;; amdgpu-corpus repo=ROCm/aiter kind=harvested arch=n/a opt=n/a

/root/src/amdgpu-assembly/repos/ROCm__aiter/hsa/gfx942/fmoe/gelu/fmoe_fp16_noquantFp16_g1u0_vs_atm_inlv_gelu_1tg_32x512.co:	file format elf64-amdgpu

Disassembly of section .text:

0000000000002e00 <_ZN5aiter54fmoe_fp16_noquantFp16_g1u0_vs_atm_inlv_gelu_1tg_32x512E>:
	s_and_b32 s1, s1, 0xffff                                   // 000000002E00: 8601FF01 0000FFFF
	s_load_dwordx2 s[8:9], s[0:1], 0x0                         // 000000002E08: C0060200 00000000
	s_load_dwordx2 s[16:17], s[0:1], 0x10                      // 000000002E10: C0060400 00000010
	s_load_dwordx2 s[20:21], s[0:1], 0x20                      // 000000002E18: C0060500 00000020
	s_load_dwordx2 s[32:33], s[0:1], 0x30                      // 000000002E20: C0060800 00000030
	s_load_dwordx2 s[12:13], s[0:1], 0x40                      // 000000002E28: C0060300 00000040
	s_load_dwordx2 s[28:29], s[0:1], 0x90                      // 000000002E30: C0060700 00000090
	s_load_dwordx2 s[24:25], s[0:1], 0xa0                      // 000000002E38: C0060600 000000A0
	s_load_dwordx2 s[30:31], s[0:1], 0xb0                      // 000000002E40: C0060780 000000B0
	s_load_dword s64, s[0:1], 0xc0                             // 000000002E48: C0021000 000000C0
	s_load_dword s65, s[0:1], 0xd0                             // 000000002E50: C0021040 000000D0
	s_load_dword s66, s[0:1], 0xe0                             // 000000002E58: C0021080 000000E0
	s_load_dword s67, s[0:1], 0xf0                             // 000000002E60: C00210C0 000000F0
	s_load_dword s68, s[0:1], 0x100                            // 000000002E68: C0021100 00000100
	s_load_dword s69, s[0:1], 0x110                            // 000000002E70: C0021140 00000110
	s_load_dword s70, s[0:1], 0x120                            // 000000002E78: C0021180 00000120
	s_load_dword s71, s[0:1], 0x130                            // 000000002E80: C00211C0 00000130
	s_load_dword s72, s[0:1], 0x140                            // 000000002E88: C0021200 00000140
	s_load_dword s73, s[0:1], 0x150                            // 000000002E90: C0021240 00000150
	v_lshrrev_b32_e32 v1, 10, v0                               // 000000002E98: 2002008A
	v_lshrrev_b32_e32 v2, 10, v1                               // 000000002E9C: 2004028A
	v_and_b32_e32 v2, 0x3ff, v2                                // 000000002EA0: 260404FF 000003FF
	v_and_b32_e32 v1, 0x3ff, v1                                // 000000002EA8: 260202FF 000003FF
	v_and_b32_e32 v0, 0x3ff, v0                                // 000000002EB0: 260000FF 000003FF
	v_lshrrev_b32_e32 v3, 6, v0                                // 000000002EB8: 20060086
	v_and_b32_e32 v0, 63, v0                                   // 000000002EBC: 260000BF
	s_mov_b32 s2, s2                                           // 000000002EC0: BE820002
	s_mov_b32 s3, s3                                           // 000000002EC4: BE830003
	s_mov_b32 s4, s4                                           // 000000002EC8: BE840004
	v_readfirstlane_b32 s7, v3                                 // 000000002ECC: 7E0E0503
	s_waitcnt lgkmcnt(0)                                       // 000000002ED0: BF8CC07F
	s_and_b32 s33, s33, 0xffff                                 // 000000002ED4: 8621FF21 0000FFFF
	s_load_dword s32, s[32:33], 0x0                            // 000000002EDC: C0020810 00000000
	s_and_b32 s29, s29, 0xffff                                 // 000000002EE4: 861DFF1D 0000FFFF
	s_and_b32 s31, s31, 0xffff                                 // 000000002EEC: 861FFF1F 0000FFFF
	s_and_b32 s9, s9, 0xffff                                   // 000000002EF4: 8609FF09 0000FFFF
	s_mul_i32 s60, s66, s68                                    // 000000002EFC: 923C4442
	s_mul_i32 s62, s66, s71                                    // 000000002F00: 923E4742
	s_mov_b32 s18, s60                                         // 000000002F04: BE92003C
	s_mov_b32 s22, -16                                         // 000000002F08: BE9600D0
	s_mov_b32 s14, -16                                         // 000000002F0C: BE8E00D0
	s_mov_b32 s26, -16                                         // 000000002F10: BE9A00D0
	s_mov_b32 s19, 0x20000                                     // 000000002F14: BE9300FF 00020000
	s_mov_b32 s23, 0x20000                                     // 000000002F1C: BE9700FF 00020000
	s_mov_b32 s15, 0x20000                                     // 000000002F24: BE8F00FF 00020000
	s_mov_b32 s27, 0x20000                                     // 000000002F2C: BE9B00FF 00020000
	s_and_b32 s17, s17, 0xffff                                 // 000000002F34: 8611FF11 0000FFFF
	s_and_b32 s21, s21, 0xffff                                 // 000000002F3C: 8615FF15 0000FFFF
	s_and_b32 s13, s13, 0xffff                                 // 000000002F44: 860DFF0D 0000FFFF
	s_and_b32 s25, s25, 0xffff                                 // 000000002F4C: 8619FF19 0000FFFF
	s_or_b32 s17, s17, 0x40000                                 // 000000002F54: 8711FF11 00040000
	s_or_b32 s21, s21, 0x40000                                 // 000000002F5C: 8715FF15 00040000
	s_or_b32 s13, s13, 0x40000                                 // 000000002F64: 870DFF0D 00040000
	s_or_b32 s25, s25, 0x40000                                 // 000000002F6C: 8719FF19 00040000
	v_accvgpr_write_b32 a255, 0                                // 000000002F74: D3D940FF 18000080
	v_mov_b32_e32 v255, 0                                      // 000000002F7C: 7FFE0280
	s_waitcnt lgkmcnt(0)                                       // 000000002F80: BF8CC07F
	s_mul_i32 s60, s3, 32                                      // 000000002F84: 923CA003
	s_cmp_lt_i32 s60, s32                                      // 000000002F88: BF04203C
	s_cbranch_scc0 label_1A8E                                  // 000000002F8C: BF841A2A
	s_mov_b32 s80, 0                                           // 000000002F90: BED00080
	s_mov_b32 s81, s64                                         // 000000002F94: BED10040
	s_mul_i32 s60, s3, 4                                       // 000000002F98: 923C8403
	s_add_u32 s30, s60, s30                                    // 000000002F9C: 801E1E3C
	s_addc_u32 s31, 0, s31                                     // 000000002FA0: 821F1F80
	s_load_dword s5, s[30:31], 0x0                             // 000000002FA4: C002014F 00000000
	s_mul_i32 s60, s3, 32                                      // 000000002FAC: 923CA003
	s_add_u32 s60, s7, s60                                     // 000000002FB0: 803C3C07
	s_mul_i32 s60, 4, s60                                      // 000000002FB4: 923C3C84
	s_add_u32 s28, s60, s28                                    // 000000002FB8: 801C1C3C
	s_addc_u32 s29, 0, s29                                     // 000000002FBC: 821D1D80
	s_load_dword s82, s[28:29], 0x0                            // 000000002FC0: C002148E 00000000
	s_load_dword s83, s[28:29], 0x10                           // 000000002FC8: C00214CE 00000010
	s_load_dword s84, s[28:29], 0x20                           // 000000002FD0: C002150E 00000020
	s_load_dword s85, s[28:29], 0x30                           // 000000002FD8: C002154E 00000030
	s_load_dword s86, s[28:29], 0x40                           // 000000002FE0: C002158E 00000040
	s_load_dword s87, s[28:29], 0x50                           // 000000002FE8: C00215CE 00000050
	s_load_dword s88, s[28:29], 0x60                           // 000000002FF0: C002160E 00000060
	s_load_dword s89, s[28:29], 0x70                           // 000000002FF8: C002164E 00000070
	s_mul_i32 s60, s3, 32                                      // 000000003000: 923CA003
	s_mul_i32 s60, 4, s60                                      // 000000003004: 923C3C84
	s_add_u32 s24, s60, s24                                    // 000000003008: 8018183C
	s_addc_u32 s25, 0, s25                                     // 00000000300C: 82191980
	v_and_b32_e32 v54, 15, v0                                  // 000000003010: 266C008F
	v_lshlrev_b32_e32 v6, 2, v54                               // 000000003014: 240C6C82
	v_add_u32_e32 v7, 64, v6                                   // 000000003018: 680E0CC0
	buffer_load_dword v8, v6, s[24:27], 0 offen                // 00000000301C: E0501000 80060806
	buffer_load_dword v9, v7, s[24:27], 0 offen                // 000000003024: E0501000 80060907
	s_waitcnt lgkmcnt(0)                                       // 00000000302C: BF8CC07F
	v_lshlrev_b32_e32 v54, 2, v0                               // 000000003030: 246C0082
	s_and_b32 s82, s82, 0xffffff                               // 000000003034: 8652FF52 00FFFFFF
	s_mul_i32 s60, s82, s68                                    // 00000000303C: 923C4452
	v_add_u32_e64 v10, v54, s60                                // 000000003040: D134000A 00007936
	s_and_b32 s83, s83, 0xffffff                               // 000000003048: 8653FF53 00FFFFFF
	s_mul_i32 s60, s83, s68                                    // 000000003050: 923C4453
	v_add_u32_e64 v11, v54, s60                                // 000000003054: D134000B 00007936
	s_and_b32 s84, s84, 0xffffff                               // 00000000305C: 8654FF54 00FFFFFF
	s_mul_i32 s60, s84, s68                                    // 000000003064: 923C4454
	v_add_u32_e64 v12, v54, s60                                // 000000003068: D134000C 00007936
	s_and_b32 s85, s85, 0xffffff                               // 000000003070: 8655FF55 00FFFFFF
	s_mul_i32 s60, s85, s68                                    // 000000003078: 923C4455
	v_add_u32_e64 v13, v54, s60                                // 00000000307C: D134000D 00007936
	s_and_b32 s86, s86, 0xffffff                               // 000000003084: 8656FF56 00FFFFFF
	s_mul_i32 s60, s86, s68                                    // 00000000308C: 923C4456
	v_add_u32_e64 v14, v54, s60                                // 000000003090: D134000E 00007936
	s_and_b32 s87, s87, 0xffffff                               // 000000003098: 8657FF57 00FFFFFF
	s_mul_i32 s60, s87, s68                                    // 0000000030A0: 923C4457
	v_add_u32_e64 v15, v54, s60                                // 0000000030A4: D134000F 00007936
	s_and_b32 s88, s88, 0xffffff                               // 0000000030AC: 8658FF58 00FFFFFF
	s_mul_i32 s60, s88, s68                                    // 0000000030B4: 923C4458
	v_add_u32_e64 v16, v54, s60                                // 0000000030B8: D1340010 00007936
	s_and_b32 s89, s89, 0xffffff                               // 0000000030C0: 8659FF59 00FFFFFF
	s_mul_i32 s60, s89, s68                                    // 0000000030C8: 923C4459
	v_add_u32_e64 v17, v54, s60                                // 0000000030CC: D1340011 00007936
	v_lshlrev_b32_e32 v54, 2, v0                               // 0000000030D4: 246C0082
	s_mul_i32 s60, s82, s71                                    // 0000000030D8: 923C4752
	v_add_u32_e64 v34, v54, s60                                // 0000000030DC: D1340022 00007936
	v_mov_b32_e32 v35, 0                                       // 0000000030E4: 7E460280
	s_mul_i32 s60, s83, s71                                    // 0000000030E8: 923C4753
	v_add_u32_e64 v36, v54, s60                                // 0000000030EC: D1340024 00007936
	v_mov_b32_e32 v37, 0                                       // 0000000030F4: 7E4A0280
	s_mul_i32 s60, s84, s71                                    // 0000000030F8: 923C4754
	v_add_u32_e64 v38, v54, s60                                // 0000000030FC: D1340026 00007936
	v_mov_b32_e32 v39, 0                                       // 000000003104: 7E4E0280
	s_mul_i32 s60, s85, s71                                    // 000000003108: 923C4755
	v_add_u32_e64 v40, v54, s60                                // 00000000310C: D1340028 00007936
	v_mov_b32_e32 v41, 0                                       // 000000003114: 7E520280
	s_mul_i32 s60, s86, s71                                    // 000000003118: 923C4756
	v_add_u32_e64 v42, v54, s60                                // 00000000311C: D134002A 00007936
	v_mov_b32_e32 v43, 0                                       // 000000003124: 7E560280
	s_mul_i32 s60, s87, s71                                    // 000000003128: 923C4757
	v_add_u32_e64 v44, v54, s60                                // 00000000312C: D134002C 00007936
	v_mov_b32_e32 v45, 0                                       // 000000003134: 7E5A0280
	s_mul_i32 s60, s88, s71                                    // 000000003138: 923C4758
	v_add_u32_e64 v46, v54, s60                                // 00000000313C: D134002E 00007936
	v_mov_b32_e32 v47, 0                                       // 000000003144: 7E5E0280
	s_mul_i32 s60, s89, s71                                    // 000000003148: 923C4759
	v_add_u32_e64 v48, v54, s60                                // 00000000314C: D1340030 00007936
	v_mov_b32_e32 v49, 0                                       // 000000003154: 7E620280
	s_mul_i32 s60, s7, 0x820                                   // 000000003158: 923CFF07 00000820
	s_add_u32 s36, 0, s60                                      // 000000003160: 80243C80
	s_add_u32 s37, 0x2080, s36                                 // 000000003164: 802524FF 00002080
	v_lshrrev_b32_e32 v54, 4, v0                               // 00000000316C: 206C0084
	v_lshlrev_b32_e32 v55, 2, v54                              // 000000003170: 246E6C82
	v_and_b32_e32 v54, 15, v0                                  // 000000003174: 266C008F
	v_lshrrev_b32_e32 v56, 2, v54                              // 000000003178: 20706C82
	v_lshlrev_b32_e32 v56, 6, v56                              // 00000000317C: 24707086
	v_add_u32_e32 v55, v56, v55                                // 000000003180: 686E6F38
	v_and_b32_e32 v54, 3, v0                                   // 000000003184: 266C0083
	v_mul_i32_i24_e32 v56, 0x208, v54                          // 000000003188: 0C706CFF 00000208
	v_add_u32_e32 v55, v56, v55                                // 000000003190: 686E6F38
	v_lshlrev_b32_e32 v2, 2, v55                               // 000000003194: 24046E82
	s_mul_i32 s60, s2, 0x200                                   // 000000003198: 923CFF02 00000200
	s_mul_i32 s60, s60, s69                                    // 0000000031A0: 923C453C
	s_mul_i32 s61, s5, s72                                     // 0000000031A4: 923D4805
	s_add_u32 s60, s61, s60                                    // 0000000031A8: 803C3C3D
	s_add_u32 s20, s60, s20                                    // 0000000031AC: 8014143C
	s_addc_u32 s21, 0, s21                                     // 0000000031B0: 82151580
	s_mul_i32 s60, s7, 16                                      // 0000000031B4: 923C9007
	s_mul_i32 s60, s60, s69                                    // 0000000031B8: 923C453C
	v_lshlrev_b32_e32 v26, 4, v0                               // 0000000031BC: 24340084
	v_add_u32_e32 v26, s60, v26                                // 0000000031C0: 6834343C
	s_mul_i32 s60, 64, s69                                     // 0000000031C4: 923C45C0
	v_add_u32_e32 v27, s60, v26                                // 0000000031C8: 6836343C
	v_add_u32_e32 v28, s60, v27                                // 0000000031CC: 6838363C
	v_add_u32_e32 v29, s60, v28                                // 0000000031D0: 683A383C
	v_add_u32_e32 v30, s60, v29                                // 0000000031D4: 683C3A3C
	v_add_u32_e32 v31, s60, v30                                // 0000000031D8: 683E3C3C
	v_add_u32_e32 v32, s60, v31                                // 0000000031DC: 68403E3C
	v_add_u32_e32 v33, s60, v32                                // 0000000031E0: 6842403C
	s_mul_i32 s60, s2, 0x4000                                  // 0000000031E4: 923CFF02 00004000
	s_mul_i32 s61, s5, s73                                     // 0000000031EC: 923D4905
	s_add_u32 s60, s61, s60                                    // 0000000031F0: 803C3C3D
	s_add_u32 s12, s60, s12                                    // 0000000031F4: 800C0C3C
	s_addc_u32 s13, 0, s13                                     // 0000000031F8: 820D0D80
	s_mul_i32 s60, s7, 16                                      // 0000000031FC: 923C9007
	s_mul_i32 s60, s60, s70                                    // 000000003200: 923C463C
	v_lshlrev_b32_e32 v18, 4, v0                               // 000000003204: 24240084
	v_add_u32_e32 v18, s60, v18                                // 000000003208: 6824243C
	s_mul_i32 s60, 64, s70                                     // 00000000320C: 923C46C0
	v_add_u32_e32 v19, s60, v18                                // 000000003210: 6826243C
	v_add_u32_e32 v20, 0x1000, v18                             // 000000003214: 682824FF 00001000
	v_add_u32_e32 v21, 0x1000, v19                             // 00000000321C: 682A26FF 00001000
	v_add_u32_e32 v22, 0x1000, v20                             // 000000003224: 682C28FF 00001000
	v_add_u32_e32 v23, 0x1000, v21                             // 00000000322C: 682E2AFF 00001000
	v_add_u32_e32 v24, 0x1000, v22                             // 000000003234: 68302CFF 00001000
	v_add_u32_e32 v25, 0x1000, v23                             // 00000000323C: 68322EFF 00001000
	s_mul_i32 s56, s70, 0x80                                   // 000000003244: 9238FF46 00000080
	s_mov_b32 s57, 0x100                                       // 00000000324C: BEB900FF 00000100
	s_mov_b32 s58, 0x1000                                      // 000000003254: BEBA00FF 00001000
	s_mov_b32 s59, 0                                           // 00000000325C: BEBB0080
	s_mov_b32 s52, 0x7060302                                   // 000000003260: BEB400FF 07060302
	s_mov_b32 s6, 0x3fb8aa3b                                   // 000000003268: BE8600FF 3FB8AA3B
	s_mov_b32 s77, 0xbd92220c                                  // 000000003270: BECD00FF BD92220C
	s_mov_b32 m0, s36                                          // 000000003278: BEFC0024
	v_mov_b32_e32 v5, 0xbfcc4231                               // 00000000327C: 7E0A02FF BFCC4231
	v_mov_b32_e32 v51, 0xffff0000                              // 000000003284: 7E6602FF FFFF0000
	v_mov_b32_e32 v52, 0x7fff0000                              // 00000000328C: 7E6802FF 7FFF0000
	v_mov_b32_e32 v53, 0x7fff                                  // 000000003294: 7E6A02FF 00007FFF
	buffer_load_dword v10, s[16:19], 0 offen lds               // 00000000329C: E0511000 8004000A
	s_add_u32 m0, 0x100, s36                                   // 0000000032A4: 807C24FF 00000100
	buffer_load_dword v11, s[16:19], 0 offen lds               // 0000000032AC: E0511000 8004000B
	s_add_u32 m0, 0x200, s36                                   // 0000000032B4: 807C24FF 00000200
	buffer_load_dword v12, s[16:19], 0 offen lds               // 0000000032BC: E0511000 8004000C
	s_add_u32 m0, 0x300, s36                                   // 0000000032C4: 807C24FF 00000300
	buffer_load_dword v13, s[16:19], 0 offen lds               // 0000000032CC: E0511000 8004000D
	s_add_u32 m0, 0x400, s36                                   // 0000000032D4: 807C24FF 00000400
	buffer_load_dword v14, s[16:19], 0 offen lds               // 0000000032DC: E0511000 8004000E
	s_add_u32 m0, 0x500, s36                                   // 0000000032E4: 807C24FF 00000500
	buffer_load_dword v15, s[16:19], 0 offen lds               // 0000000032EC: E0511000 8004000F
	s_add_u32 m0, 0x600, s36                                   // 0000000032F4: 807C24FF 00000600
	buffer_load_dword v16, s[16:19], 0 offen lds               // 0000000032FC: E0511000 80040010
	s_add_u32 m0, 0x700, s36                                   // 000000003304: 807C24FF 00000700
	buffer_load_dword v17, s[16:19], 0 offen lds               // 00000000330C: E0511000 80040011
	s_add_u32 m0, 0, s37                                       // 000000003314: 807C2580
	s_add_u32 s16, s57, s16                                    // 000000003318: 80101039
	s_addc_u32 s17, 0, s17                                     // 00000000331C: 82111180
	buffer_load_dword v10, s[16:19], 0 offen lds               // 000000003320: E0511000 8004000A
	s_add_u32 m0, 0x100, s37                                   // 000000003328: 807C25FF 00000100
	buffer_load_dword v11, s[16:19], 0 offen lds               // 000000003330: E0511000 8004000B
	s_add_u32 m0, 0x200, s37                                   // 000000003338: 807C25FF 00000200
	buffer_load_dword v12, s[16:19], 0 offen lds               // 000000003340: E0511000 8004000C
	s_add_u32 m0, 0x300, s37                                   // 000000003348: 807C25FF 00000300
	buffer_load_dword v13, s[16:19], 0 offen lds               // 000000003350: E0511000 8004000D
	s_add_u32 m0, 0x400, s37                                   // 000000003358: 807C25FF 00000400
	buffer_load_dword v14, s[16:19], 0 offen lds               // 000000003360: E0511000 8004000E
	s_add_u32 m0, 0x500, s37                                   // 000000003368: 807C25FF 00000500
	buffer_load_dword v15, s[16:19], 0 offen lds               // 000000003370: E0511000 8004000F
	s_add_u32 m0, 0x600, s37                                   // 000000003378: 807C25FF 00000600
	buffer_load_dword v16, s[16:19], 0 offen lds               // 000000003380: E0511000 80040010
	s_add_u32 m0, 0x700, s37                                   // 000000003388: 807C25FF 00000700
	buffer_load_dword v17, s[16:19], 0 offen lds               // 000000003390: E0511000 80040011
	s_add_u32 m0, 0, s36                                       // 000000003398: 807C2480
	s_add_u32 s16, s57, s16                                    // 00000000339C: 80101039
	s_addc_u32 s17, 0, s17                                     // 0000000033A0: 82111180
	buffer_load_dwordx4 a[0:3], v26, s[20:23], 0 offen         // 0000000033A4: E05C1000 8085001A
	buffer_load_dwordx4 a[4:7], v26, s[20:23], 0 offen offset:1024// 0000000033AC: E05C1400 8085041A
	buffer_load_dwordx4 a[8:11], v26, s[20:23], 0 offen offset:2048// 0000000033B4: E05C1800 8085081A
	buffer_load_dwordx4 a[12:15], v26, s[20:23], 0 offen offset:3072// 0000000033BC: E05C1C00 80850C1A
	buffer_load_dwordx4 a[16:19], v27, s[20:23], 0 offen       // 0000000033C4: E05C1000 8085101B
	buffer_load_dwordx4 a[20:23], v27, s[20:23], 0 offen offset:1024// 0000000033CC: E05C1400 8085141B
	buffer_load_dwordx4 a[24:27], v27, s[20:23], 0 offen offset:2048// 0000000033D4: E05C1800 8085181B
	buffer_load_dwordx4 a[28:31], v27, s[20:23], 0 offen offset:3072// 0000000033DC: E05C1C00 80851C1B
	buffer_load_dwordx4 a[32:35], v28, s[20:23], 0 offen       // 0000000033E4: E05C1000 8085201C
	buffer_load_dwordx4 a[36:39], v28, s[20:23], 0 offen offset:1024// 0000000033EC: E05C1400 8085241C
	buffer_load_dwordx4 a[40:43], v28, s[20:23], 0 offen offset:2048// 0000000033F4: E05C1800 8085281C
	buffer_load_dwordx4 a[44:47], v28, s[20:23], 0 offen offset:3072// 0000000033FC: E05C1C00 80852C1C
	buffer_load_dwordx4 a[48:51], v29, s[20:23], 0 offen       // 000000003404: E05C1000 8085301D
	buffer_load_dwordx4 a[52:55], v29, s[20:23], 0 offen offset:1024// 00000000340C: E05C1400 8085341D
	buffer_load_dwordx4 a[56:59], v29, s[20:23], 0 offen offset:2048// 000000003414: E05C1800 8085381D
	buffer_load_dwordx4 a[60:63], v29, s[20:23], 0 offen offset:3072// 00000000341C: E05C1C00 80853C1D
	buffer_load_dwordx4 a[64:67], v30, s[20:23], 0 offen       // 000000003424: E05C1000 8085401E
	buffer_load_dwordx4 a[68:71], v30, s[20:23], 0 offen offset:1024// 00000000342C: E05C1400 8085441E
	buffer_load_dwordx4 a[72:75], v30, s[20:23], 0 offen offset:2048// 000000003434: E05C1800 8085481E
	buffer_load_dwordx4 a[76:79], v30, s[20:23], 0 offen offset:3072// 00000000343C: E05C1C00 80854C1E
	buffer_load_dwordx4 a[80:83], v31, s[20:23], 0 offen       // 000000003444: E05C1000 8085501F
	buffer_load_dwordx4 a[84:87], v31, s[20:23], 0 offen offset:1024// 00000000344C: E05C1400 8085541F
	buffer_load_dwordx4 a[88:91], v31, s[20:23], 0 offen offset:2048// 000000003454: E05C1800 8085581F
	buffer_load_dwordx4 a[92:95], v31, s[20:23], 0 offen offset:3072// 00000000345C: E05C1C00 80855C1F
	buffer_load_dwordx4 a[96:99], v32, s[20:23], 0 offen       // 000000003464: E05C1000 80856020
	buffer_load_dwordx4 a[100:103], v32, s[20:23], 0 offen offset:1024// 00000000346C: E05C1400 80856420
	buffer_load_dwordx4 a[104:107], v32, s[20:23], 0 offen offset:2048// 000000003474: E05C1800 80856820
	buffer_load_dwordx4 a[108:111], v32, s[20:23], 0 offen offset:3072// 00000000347C: E05C1C00 80856C20
	buffer_load_dwordx4 a[112:115], v33, s[20:23], 0 offen     // 000000003484: E05C1000 80857021
	buffer_load_dwordx4 a[116:119], v33, s[20:23], 0 offen offset:1024// 00000000348C: E05C1400 80857421
	buffer_load_dwordx4 a[120:123], v33, s[20:23], 0 offen offset:2048// 000000003494: E05C1800 80857821
	buffer_load_dwordx4 a[124:127], v33, s[20:23], 0 offen offset:3072// 00000000349C: E05C1C00 80857C21
	s_add_u32 s20, s58, s20                                    // 0000000034A4: 8014143A
	s_addc_u32 s21, 0, s21                                     // 0000000034A8: 82151580
	v_mov_b32_e32 v128, 0                                      // 0000000034AC: 7F000280
	v_mov_b32_e32 v129, 0                                      // 0000000034B0: 7F020280
	v_mov_b32_e32 v130, 0                                      // 0000000034B4: 7F040280
	v_mov_b32_e32 v131, 0                                      // 0000000034B8: 7F060280
	v_mov_b32_e32 v132, 0                                      // 0000000034BC: 7F080280
	v_mov_b32_e32 v133, 0                                      // 0000000034C0: 7F0A0280
	v_mov_b32_e32 v134, 0                                      // 0000000034C4: 7F0C0280
	v_mov_b32_e32 v135, 0                                      // 0000000034C8: 7F0E0280
	v_mov_b32_e32 v136, 0                                      // 0000000034CC: 7F100280
	v_mov_b32_e32 v137, 0                                      // 0000000034D0: 7F120280
	v_mov_b32_e32 v138, 0                                      // 0000000034D4: 7F140280
	v_mov_b32_e32 v139, 0                                      // 0000000034D8: 7F160280
	v_mov_b32_e32 v140, 0                                      // 0000000034DC: 7F180280
	v_mov_b32_e32 v141, 0                                      // 0000000034E0: 7F1A0280
	v_mov_b32_e32 v142, 0                                      // 0000000034E4: 7F1C0280
	v_mov_b32_e32 v143, 0                                      // 0000000034E8: 7F1E0280
	v_mov_b32_e32 v144, 0                                      // 0000000034EC: 7F200280
	v_mov_b32_e32 v145, 0                                      // 0000000034F0: 7F220280
	v_mov_b32_e32 v146, 0                                      // 0000000034F4: 7F240280
	v_mov_b32_e32 v147, 0                                      // 0000000034F8: 7F260280
	v_mov_b32_e32 v148, 0                                      // 0000000034FC: 7F280280
	v_mov_b32_e32 v149, 0                                      // 000000003500: 7F2A0280
	v_mov_b32_e32 v150, 0                                      // 000000003504: 7F2C0280
	v_mov_b32_e32 v151, 0                                      // 000000003508: 7F2E0280
	v_mov_b32_e32 v152, 0                                      // 00000000350C: 7F300280
	v_mov_b32_e32 v153, 0                                      // 000000003510: 7F320280
	v_mov_b32_e32 v154, 0                                      // 000000003514: 7F340280
	v_mov_b32_e32 v155, 0                                      // 000000003518: 7F360280
	v_mov_b32_e32 v156, 0                                      // 00000000351C: 7F380280
	v_mov_b32_e32 v157, 0                                      // 000000003520: 7F3A0280
	v_mov_b32_e32 v158, 0                                      // 000000003524: 7F3C0280
	v_mov_b32_e32 v159, 0                                      // 000000003528: 7F3E0280
	v_mov_b32_e32 v160, 0                                      // 00000000352C: 7F400280
	v_mov_b32_e32 v161, 0                                      // 000000003530: 7F420280
	v_mov_b32_e32 v162, 0                                      // 000000003534: 7F440280
	v_mov_b32_e32 v163, 0                                      // 000000003538: 7F460280
	v_mov_b32_e32 v164, 0                                      // 00000000353C: 7F480280
	v_mov_b32_e32 v165, 0                                      // 000000003540: 7F4A0280
	v_mov_b32_e32 v166, 0                                      // 000000003544: 7F4C0280
	v_mov_b32_e32 v167, 0                                      // 000000003548: 7F4E0280
	v_mov_b32_e32 v168, 0                                      // 00000000354C: 7F500280
	v_mov_b32_e32 v169, 0                                      // 000000003550: 7F520280
	v_mov_b32_e32 v170, 0                                      // 000000003554: 7F540280
	v_mov_b32_e32 v171, 0                                      // 000000003558: 7F560280
	v_mov_b32_e32 v172, 0                                      // 00000000355C: 7F580280
	v_mov_b32_e32 v173, 0                                      // 000000003560: 7F5A0280
	v_mov_b32_e32 v174, 0                                      // 000000003564: 7F5C0280
	v_mov_b32_e32 v175, 0                                      // 000000003568: 7F5E0280
	v_mov_b32_e32 v176, 0                                      // 00000000356C: 7F600280
	v_mov_b32_e32 v177, 0                                      // 000000003570: 7F620280
	v_mov_b32_e32 v178, 0                                      // 000000003574: 7F640280
	v_mov_b32_e32 v179, 0                                      // 000000003578: 7F660280
	v_mov_b32_e32 v180, 0                                      // 00000000357C: 7F680280
	v_mov_b32_e32 v181, 0                                      // 000000003580: 7F6A0280
	v_mov_b32_e32 v182, 0                                      // 000000003584: 7F6C0280
	v_mov_b32_e32 v183, 0                                      // 000000003588: 7F6E0280
	v_mov_b32_e32 v184, 0                                      // 00000000358C: 7F700280
	v_mov_b32_e32 v185, 0                                      // 000000003590: 7F720280
	v_mov_b32_e32 v186, 0                                      // 000000003594: 7F740280
	v_mov_b32_e32 v187, 0                                      // 000000003598: 7F760280
	v_mov_b32_e32 v188, 0                                      // 00000000359C: 7F780280
	v_mov_b32_e32 v189, 0                                      // 0000000035A0: 7F7A0280
	v_mov_b32_e32 v190, 0                                      // 0000000035A4: 7F7C0280
	v_mov_b32_e32 v191, 0                                      // 0000000035A8: 7F7E0280
	v_lshrrev_b32_e32 v54, 4, v0                               // 0000000035AC: 206C0084
	v_mul_i32_i24_e32 v3, 34, v54                              // 0000000035B0: 0C066CA2
	v_and_b32_e32 v54, 15, v0                                  // 0000000035B4: 266C008F
	v_mul_i32_i24_e32 v55, 2, v54                              // 0000000035B8: 0C6E6C82
	v_add_u32_e32 v3, v55, v3                                  // 0000000035BC: 68060737
	s_mul_i32 s60, s7, 0x88                                    // 0000000035C0: 923CFF07 00000088
	v_add_u32_e32 v3, s60, v3                                  // 0000000035C8: 6806063C
	v_lshlrev_b32_e32 v3, 2, v3                                // 0000000035CC: 24060682
	v_lshrrev_b32_e32 v54, 1, v0                               // 0000000035D0: 206C0081
	v_mul_i32_i24_e32 v4, 34, v54                              // 0000000035D4: 0C086CA2
	v_and_b32_e32 v55, 1, v0                                   // 0000000035D8: 266E0081
	v_add_u32_e32 v4, v55, v4                                  // 0000000035DC: 68080937
	s_mul_i32 s60, s7, 2                                       // 0000000035E0: 923C8207
	v_add_u32_e32 v4, s60, v4                                  // 0000000035E4: 6808083C
	v_lshlrev_b32_e32 v4, 2, v4                                // 0000000035E8: 24080882
	s_waitcnt vmcnt(40)                                        // 0000000035EC: BF8C8F78
	s_barrier                                                  // 0000000035F0: BF8A0000
	ds_read_b128 v[64:67], v2                                  // 0000000035F4: D9FE0000 40000002
	ds_read_b128 v[68:71], v2 offset:64                        // 0000000035FC: D9FE0040 44000002
	ds_read_b128 v[72:75], v2 offset:128                       // 000000003604: D9FE0080 48000002
	ds_read_b128 v[76:79], v2 offset:192                       // 00000000360C: D9FE00C0 4C000002
	ds_read_b128 v[80:83], v2 offset:1024                      // 000000003614: D9FE0400 50000002
	ds_read_b128 v[84:87], v2 offset:1088                      // 00000000361C: D9FE0440 54000002
	ds_read_b128 v[88:91], v2 offset:1152                      // 000000003624: D9FE0480 58000002
	ds_read_b128 v[92:95], v2 offset:1216                      // 00000000362C: D9FE04C0 5C000002
	s_cmp_lt_i32 s7, 2                                         // 000000003634: BF048207
	s_cbranch_scc0 label_0E18                                  // 000000003638: BF840C09

000000000000363c <label_020F>:
	s_waitcnt vmcnt(24) lgkmcnt(0)                             // 00000000363C: BF8C4078
	s_barrier                                                  // 000000003640: BF8A0000
	v_mfma_f32_16x16x16_bf16 v[128:131], a[0:1], v[64:65], v[128:131]// 000000003644: D3E10080 0E028100
	v_mfma_f32_16x16x16_bf16 v[128:131], a[2:3], v[66:67], v[128:131]// 00000000364C: D3E10080 0E028502
	buffer_load_dwordx4 a[128:131], v26, s[20:23], 0 offen     // 000000003654: E05C1000 8085801A
	v_mfma_f32_16x16x16_bf16 v[128:131], a[4:5], v[68:69], v[128:131]// 00000000365C: D3E10080 0E028904
	v_mfma_f32_16x16x16_bf16 v[128:131], a[6:7], v[70:71], v[128:131]// 000000003664: D3E10080 0E028D06
	buffer_load_dword v10, s[16:19], 0 offen lds               // 00000000366C: E0511000 8004000A
	s_add_u32 m0, 0x100, s36                                   // 000000003674: 807C24FF 00000100
	v_mfma_f32_16x16x16_bf16 v[128:131], a[8:9], v[72:73], v[128:131]// 00000000367C: D3E10080 0E029108
	v_mfma_f32_16x16x16_bf16 v[128:131], a[10:11], v[74:75], v[128:131]// 000000003684: D3E10080 0E02950A
	buffer_load_dwordx4 a[132:135], v26, s[20:23], 0 offen offset:1024// 00000000368C: E05C1400 8085841A
	v_mfma_f32_16x16x16_bf16 v[128:131], a[12:13], v[76:77], v[128:131]// 000000003694: D3E10080 0E02990C
	v_mfma_f32_16x16x16_bf16 v[128:131], a[14:15], v[78:79], v[128:131]// 00000000369C: D3E10080 0E029D0E
	buffer_load_dword v11, s[16:19], 0 offen lds               // 0000000036A4: E0511000 8004000B
	s_add_u32 m0, 0x200, s36                                   // 0000000036AC: 807C24FF 00000200
	v_mfma_f32_16x16x16_bf16 v[132:135], a[0:1], v[80:81], v[132:135]// 0000000036B4: D3E10084 0E12A100
	v_mfma_f32_16x16x16_bf16 v[132:135], a[2:3], v[82:83], v[132:135]// 0000000036BC: D3E10084 0E12A502
	buffer_load_dwordx4 a[136:139], v26, s[20:23], 0 offen offset:2048// 0000000036C4: E05C1800 8085881A
	v_mfma_f32_16x16x16_bf16 v[132:135], a[4:5], v[84:85], v[132:135]// 0000000036CC: D3E10084 0E12A904
	v_mfma_f32_16x16x16_bf16 v[132:135], a[6:7], v[86:87], v[132:135]// 0000000036D4: D3E10084 0E12AD06
	buffer_load_dword v12, s[16:19], 0 offen lds               // 0000000036DC: E0511000 8004000C
	s_add_u32 m0, 0x300, s36                                   // 0000000036E4: 807C24FF 00000300
	v_mfma_f32_16x16x16_bf16 v[132:135], a[8:9], v[88:89], v[132:135]// 0000000036EC: D3E10084 0E12B108
	v_mfma_f32_16x16x16_bf16 v[132:135], a[10:11], v[90:91], v[132:135]// 0000000036F4: D3E10084 0E12B50A
	buffer_load_dwordx4 a[140:143], v26, s[20:23], 0 offen offset:3072// 0000000036FC: E05C1C00 80858C1A
	v_mfma_f32_16x16x16_bf16 v[132:135], a[12:13], v[92:93], v[132:135]// 000000003704: D3E10084 0E12B90C
	v_mfma_f32_16x16x16_bf16 v[132:135], a[14:15], v[94:95], v[132:135]// 00000000370C: D3E10084 0E12BD0E
	buffer_load_dword v13, s[16:19], 0 offen lds               // 000000003714: E0511000 8004000D
	s_add_u32 m0, 0x400, s36                                   // 00000000371C: 807C24FF 00000400
	v_mfma_f32_16x16x16_bf16 v[136:139], a[16:17], v[64:65], v[136:139]// 000000003724: D3E10088 0E228110
	v_mfma_f32_16x16x16_bf16 v[136:139], a[18:19], v[66:67], v[136:139]// 00000000372C: D3E10088 0E228512
	buffer_load_dwordx4 a[144:147], v27, s[20:23], 0 offen     // 000000003734: E05C1000 8085901B
	v_mfma_f32_16x16x16_bf16 v[136:139], a[20:21], v[68:69], v[136:139]// 00000000373C: D3E10088 0E228914
	v_mfma_f32_16x16x16_bf16 v[136:139], a[22:23], v[70:71], v[136:139]// 000000003744: D3E10088 0E228D16
	buffer_load_dword v14, s[16:19], 0 offen lds               // 00000000374C: E0511000 8004000E
	s_add_u32 m0, 0x500, s36                                   // 000000003754: 807C24FF 00000500
	v_mfma_f32_16x16x16_bf16 v[136:139], a[24:25], v[72:73], v[136:139]// 00000000375C: D3E10088 0E229118
	v_mfma_f32_16x16x16_bf16 v[136:139], a[26:27], v[74:75], v[136:139]// 000000003764: D3E10088 0E22951A
	buffer_load_dwordx4 a[148:151], v27, s[20:23], 0 offen offset:1024// 00000000376C: E05C1400 8085941B
	v_mfma_f32_16x16x16_bf16 v[136:139], a[28:29], v[76:77], v[136:139]// 000000003774: D3E10088 0E22991C
	v_mfma_f32_16x16x16_bf16 v[136:139], a[30:31], v[78:79], v[136:139]// 00000000377C: D3E10088 0E229D1E
	buffer_load_dword v15, s[16:19], 0 offen lds               // 000000003784: E0511000 8004000F
	s_add_u32 m0, 0x600, s36                                   // 00000000378C: 807C24FF 00000600
	v_mfma_f32_16x16x16_bf16 v[140:143], a[16:17], v[80:81], v[140:143]// 000000003794: D3E1008C 0E32A110
	v_mfma_f32_16x16x16_bf16 v[140:143], a[18:19], v[82:83], v[140:143]// 00000000379C: D3E1008C 0E32A512
	buffer_load_dwordx4 a[152:155], v27, s[20:23], 0 offen offset:2048// 0000000037A4: E05C1800 8085981B
	v_mfma_f32_16x16x16_bf16 v[140:143], a[20:21], v[84:85], v[140:143]// 0000000037AC: D3E1008C 0E32A914
	v_mfma_f32_16x16x16_bf16 v[140:143], a[22:23], v[86:87], v[140:143]// 0000000037B4: D3E1008C 0E32AD16
	buffer_load_dword v16, s[16:19], 0 offen lds               // 0000000037BC: E0511000 80040010
	s_add_u32 m0, 0x700, s36                                   // 0000000037C4: 807C24FF 00000700
	v_mfma_f32_16x16x16_bf16 v[140:143], a[24:25], v[88:89], v[140:143]// 0000000037CC: D3E1008C 0E32B118
	v_mfma_f32_16x16x16_bf16 v[140:143], a[26:27], v[90:91], v[140:143]// 0000000037D4: D3E1008C 0E32B51A
	buffer_load_dwordx4 a[156:159], v27, s[20:23], 0 offen offset:3072// 0000000037DC: E05C1C00 80859C1B
	v_mfma_f32_16x16x16_bf16 v[140:143], a[28:29], v[92:93], v[140:143]// 0000000037E4: D3E1008C 0E32B91C
	v_mfma_f32_16x16x16_bf16 v[140:143], a[30:31], v[94:95], v[140:143]// 0000000037EC: D3E1008C 0E32BD1E
	buffer_load_dword v17, s[16:19], 0 offen lds               // 0000000037F4: E0511000 80040011
	s_add_u32 m0, 0, s37                                       // 0000000037FC: 807C2580
	s_waitcnt vmcnt(32)                                        // 000000003800: BF8C8F70
	v_mfma_f32_16x16x16_bf16 v[144:147], a[32:33], v[64:65], v[144:147]// 000000003804: D3E10090 0E428120
	v_mfma_f32_16x16x16_bf16 v[144:147], a[34:35], v[66:67], v[144:147]// 00000000380C: D3E10090 0E428522
	buffer_load_dwordx4 a[160:163], v28, s[20:23], 0 offen     // 000000003814: E05C1000 8085A01C
	v_mfma_f32_16x16x16_bf16 v[144:147], a[36:37], v[68:69], v[144:147]// 00000000381C: D3E10090 0E428924
	v_mfma_f32_16x16x16_bf16 v[144:147], a[38:39], v[70:71], v[144:147]// 000000003824: D3E10090 0E428D26
	ds_read_b128 v[96:99], v2 offset:8320                      // 00000000382C: D9FE2080 60000002
	v_mfma_f32_16x16x16_bf16 v[144:147], a[40:41], v[72:73], v[144:147]// 000000003834: D3E10090 0E429128
	v_mfma_f32_16x16x16_bf16 v[144:147], a[42:43], v[74:75], v[144:147]// 00000000383C: D3E10090 0E42952A
	buffer_load_dwordx4 a[164:167], v28, s[20:23], 0 offen offset:1024// 000000003844: E05C1400 8085A41C
	v_mfma_f32_16x16x16_bf16 v[144:147], a[44:45], v[76:77], v[144:147]// 00000000384C: D3E10090 0E42992C
	v_mfma_f32_16x16x16_bf16 v[144:147], a[46:47], v[78:79], v[144:147]// 000000003854: D3E10090 0E429D2E
	ds_read_b128 v[100:103], v2 offset:8384                    // 00000000385C: D9FE20C0 64000002
	v_mfma_f32_16x16x16_bf16 v[148:151], a[32:33], v[80:81], v[148:151]// 000000003864: D3E10094 0E52A120
	v_mfma_f32_16x16x16_bf16 v[148:151], a[34:35], v[82:83], v[148:151]// 00000000386C: D3E10094 0E52A522
	buffer_load_dwordx4 a[168:171], v28, s[20:23], 0 offen offset:2048// 000000003874: E05C1800 8085A81C
	v_mfma_f32_16x16x16_bf16 v[148:151], a[36:37], v[84:85], v[148:151]// 00000000387C: D3E10094 0E52A924
	v_mfma_f32_16x16x16_bf16 v[148:151], a[38:39], v[86:87], v[148:151]// 000000003884: D3E10094 0E52AD26
	ds_read_b128 v[104:107], v2 offset:8448                    // 00000000388C: D9FE2100 68000002
	v_mfma_f32_16x16x16_bf16 v[148:151], a[40:41], v[88:89], v[148:151]// 000000003894: D3E10094 0E52B128
	v_mfma_f32_16x16x16_bf16 v[148:151], a[42:43], v[90:91], v[148:151]// 00000000389C: D3E10094 0E52B52A
	buffer_load_dwordx4 a[172:175], v28, s[20:23], 0 offen offset:3072// 0000000038A4: E05C1C00 8085AC1C
	v_mfma_f32_16x16x16_bf16 v[148:151], a[44:45], v[92:93], v[148:151]// 0000000038AC: D3E10094 0E52B92C
	v_mfma_f32_16x16x16_bf16 v[148:151], a[46:47], v[94:95], v[148:151]// 0000000038B4: D3E10094 0E52BD2E
	ds_read_b128 v[108:111], v2 offset:8512                    // 0000000038BC: D9FE2140 6C000002
	v_mfma_f32_16x16x16_bf16 v[152:155], a[48:49], v[64:65], v[152:155]// 0000000038C4: D3E10098 0E628130
	v_mfma_f32_16x16x16_bf16 v[152:155], a[50:51], v[66:67], v[152:155]// 0000000038CC: D3E10098 0E628532
	buffer_load_dwordx4 a[176:179], v29, s[20:23], 0 offen     // 0000000038D4: E05C1000 8085B01D
	v_mfma_f32_16x16x16_bf16 v[152:155], a[52:53], v[68:69], v[152:155]// 0000000038DC: D3E10098 0E628934
	v_mfma_f32_16x16x16_bf16 v[152:155], a[54:55], v[70:71], v[152:155]// 0000000038E4: D3E10098 0E628D36
	ds_read_b128 v[112:115], v2 offset:9344                    // 0000000038EC: D9FE2480 70000002
	v_mfma_f32_16x16x16_bf16 v[152:155], a[56:57], v[72:73], v[152:155]// 0000000038F4: D3E10098 0E629138
	v_mfma_f32_16x16x16_bf16 v[152:155], a[58:59], v[74:75], v[152:155]// 0000000038FC: D3E10098 0E62953A
	buffer_load_dwordx4 a[180:183], v29, s[20:23], 0 offen offset:1024// 000000003904: E05C1400 8085B41D
	v_mfma_f32_16x16x16_bf16 v[152:155], a[60:61], v[76:77], v[152:155]// 00000000390C: D3E10098 0E62993C
	v_mfma_f32_16x16x16_bf16 v[152:155], a[62:63], v[78:79], v[152:155]// 000000003914: D3E10098 0E629D3E
	ds_read_b128 v[116:119], v2 offset:9408                    // 00000000391C: D9FE24C0 74000002
	v_mfma_f32_16x16x16_bf16 v[156:159], a[48:49], v[80:81], v[156:159]// 000000003924: D3E1009C 0E72A130
	v_mfma_f32_16x16x16_bf16 v[156:159], a[50:51], v[82:83], v[156:159]// 00000000392C: D3E1009C 0E72A532
	buffer_load_dwordx4 a[184:187], v29, s[20:23], 0 offen offset:2048// 000000003934: E05C1800 8085B81D
	v_mfma_f32_16x16x16_bf16 v[156:159], a[52:53], v[84:85], v[156:159]// 00000000393C: D3E1009C 0E72A934
	v_mfma_f32_16x16x16_bf16 v[156:159], a[54:55], v[86:87], v[156:159]// 000000003944: D3E1009C 0E72AD36
	ds_read_b128 v[120:123], v2 offset:9472                    // 00000000394C: D9FE2500 78000002
	v_mfma_f32_16x16x16_bf16 v[156:159], a[56:57], v[88:89], v[156:159]// 000000003954: D3E1009C 0E72B138
	v_mfma_f32_16x16x16_bf16 v[156:159], a[58:59], v[90:91], v[156:159]// 00000000395C: D3E1009C 0E72B53A
	buffer_load_dwordx4 a[188:191], v29, s[20:23], 0 offen offset:3072// 000000003964: E05C1C00 8085BC1D
	v_mfma_f32_16x16x16_bf16 v[156:159], a[60:61], v[92:93], v[156:159]// 00000000396C: D3E1009C 0E72B93C
	v_mfma_f32_16x16x16_bf16 v[156:159], a[62:63], v[94:95], v[156:159]// 000000003974: D3E1009C 0E72BD3E
	ds_read_b128 v[124:127], v2 offset:9536                    // 00000000397C: D9FE2540 7C000002
	s_waitcnt vmcnt(32)                                        // 000000003984: BF8C8F70
	v_mfma_f32_16x16x16_bf16 v[160:163], a[64:65], v[64:65], v[160:163]// 000000003988: D3E100A0 0E828140
	v_mfma_f32_16x16x16_bf16 v[160:163], a[66:67], v[66:67], v[160:163]// 000000003990: D3E100A0 0E828542
	buffer_load_dwordx4 a[192:195], v30, s[20:23], 0 offen     // 000000003998: E05C1000 8085C01E
	v_mfma_f32_16x16x16_bf16 v[160:163], a[68:69], v[68:69], v[160:163]// 0000000039A0: D3E100A0 0E828944
	s_add_u32 s60, 0x180, s80                                  // 0000000039A8: 803C50FF 00000180
	s_cmp_lt_u32 s60, s81                                      // 0000000039B0: BF0A513C
	s_cselect_b32 s57, s57, 0                                  // 0000000039B4: 85398039
	v_mfma_f32_16x16x16_bf16 v[160:163], a[70:71], v[70:71], v[160:163]// 0000000039B8: D3E100A0 0E828D46
	v_mfma_f32_16x16x16_bf16 v[160:163], a[72:73], v[72:73], v[160:163]// 0000000039C0: D3E100A0 0E829148
	v_mfma_f32_16x16x16_bf16 v[160:163], a[74:75], v[74:75], v[160:163]// 0000000039C8: D3E100A0 0E82954A
	buffer_load_dwordx4 a[196:199], v30, s[20:23], 0 offen offset:1024// 0000000039D0: E05C1400 8085C41E
	v_mfma_f32_16x16x16_bf16 v[160:163], a[76:77], v[76:77], v[160:163]// 0000000039D8: D3E100A0 0E82994C
	s_add_u32 s60, 0x100, s80                                  // 0000000039E0: 803C50FF 00000100
	s_cmp_lt_u32 s60, s81                                      // 0000000039E8: BF0A513C
	s_cselect_b32 s58, s58, 0                                  // 0000000039EC: 853A803A
	v_mfma_f32_16x16x16_bf16 v[160:163], a[78:79], v[78:79], v[160:163]// 0000000039F0: D3E100A0 0E829D4E
	v_mfma_f32_16x16x16_bf16 v[164:167], a[64:65], v[80:81], v[164:167]// 0000000039F8: D3E100A4 0E92A140
	v_mfma_f32_16x16x16_bf16 v[164:167], a[66:67], v[82:83], v[164:167]// 000000003A00: D3E100A4 0E92A542
	buffer_load_dwordx4 a[200:203], v30, s[20:23], 0 offen offset:2048// 000000003A08: E05C1800 8085C81E
	v_mfma_f32_16x16x16_bf16 v[164:167], a[68:69], v[84:85], v[164:167]// 000000003A10: D3E100A4 0E92A944
	s_add_u32 s16, s57, s16                                    // 000000003A18: 80101039
	s_addc_u32 s17, 0, s17                                     // 000000003A1C: 82111180
	v_mfma_f32_16x16x16_bf16 v[164:167], a[70:71], v[86:87], v[164:167]// 000000003A20: D3E100A4 0E92AD46
	v_mfma_f32_16x16x16_bf16 v[164:167], a[72:73], v[88:89], v[164:167]// 000000003A28: D3E100A4 0E92B148
	v_mfma_f32_16x16x16_bf16 v[164:167], a[74:75], v[90:91], v[164:167]// 000000003A30: D3E100A4 0E92B54A
	buffer_load_dwordx4 a[204:207], v30, s[20:23], 0 offen offset:3072// 000000003A38: E05C1C00 8085CC1E
	v_mfma_f32_16x16x16_bf16 v[164:167], a[76:77], v[92:93], v[164:167]// 000000003A40: D3E100A4 0E92B94C
	v_mfma_f32_16x16x16_bf16 v[164:167], a[78:79], v[94:95], v[164:167]// 000000003A48: D3E100A4 0E92BD4E
	v_mfma_f32_16x16x16_bf16 v[168:171], a[80:81], v[64:65], v[168:171]// 000000003A50: D3E100A8 0EA28150
	v_mfma_f32_16x16x16_bf16 v[168:171], a[82:83], v[66:67], v[168:171]// 000000003A58: D3E100A8 0EA28552
	buffer_load_dwordx4 a[208:211], v31, s[20:23], 0 offen     // 000000003A60: E05C1000 8085D01F
	v_mfma_f32_16x16x16_bf16 v[168:171], a[84:85], v[68:69], v[168:171]// 000000003A68: D3E100A8 0EA28954
	v_mfma_f32_16x16x16_bf16 v[168:171], a[86:87], v[70:71], v[168:171]// 000000003A70: D3E100A8 0EA28D56
	v_mfma_f32_16x16x16_bf16 v[168:171], a[88:89], v[72:73], v[168:171]// 000000003A78: D3E100A8 0EA29158
	v_mfma_f32_16x16x16_bf16 v[168:171], a[90:91], v[74:75], v[168:171]// 000000003A80: D3E100A8 0EA2955A
	buffer_load_dwordx4 a[212:215], v31, s[20:23], 0 offen offset:1024// 000000003A88: E05C1400 8085D41F
	v_mfma_f32_16x16x16_bf16 v[168:171], a[92:93], v[76:77], v[168:171]// 000000003A90: D3E100A8 0EA2995C
	v_mfma_f32_16x16x16_bf16 v[168:171], a[94:95], v[78:79], v[168:171]// 000000003A98: D3E100A8 0EA29D5E
	v_mfma_f32_16x16x16_bf16 v[172:175], a[80:81], v[80:81], v[172:175]// 000000003AA0: D3E100AC 0EB2A150
	v_mfma_f32_16x16x16_bf16 v[172:175], a[82:83], v[82:83], v[172:175]// 000000003AA8: D3E100AC 0EB2A552
	buffer_load_dwordx4 a[216:219], v31, s[20:23], 0 offen offset:2048// 000000003AB0: E05C1800 8085D81F
	v_mfma_f32_16x16x16_bf16 v[172:175], a[84:85], v[84:85], v[172:175]// 000000003AB8: D3E100AC 0EB2A954
	v_mfma_f32_16x16x16_bf16 v[172:175], a[86:87], v[86:87], v[172:175]// 000000003AC0: D3E100AC 0EB2AD56
	v_mfma_f32_16x16x16_bf16 v[172:175], a[88:89], v[88:89], v[172:175]// 000000003AC8: D3E100AC 0EB2B158
	v_mfma_f32_16x16x16_bf16 v[172:175], a[90:91], v[90:91], v[172:175]// 000000003AD0: D3E100AC 0EB2B55A
	buffer_load_dwordx4 a[220:223], v31, s[20:23], 0 offen offset:3072// 000000003AD8: E05C1C00 8085DC1F
	v_mfma_f32_16x16x16_bf16 v[172:175], a[92:93], v[92:93], v[172:175]// 000000003AE0: D3E100AC 0EB2B95C
	v_mfma_f32_16x16x16_bf16 v[172:175], a[94:95], v[94:95], v[172:175]// 000000003AE8: D3E100AC 0EB2BD5E
	s_waitcnt vmcnt(32)                                        // 000000003AF0: BF8C8F70
	v_mfma_f32_16x16x16_bf16 v[176:179], a[96:97], v[64:65], v[176:179]// 000000003AF4: D3E100B0 0EC28160
	v_mfma_f32_16x16x16_bf16 v[176:179], a[98:99], v[66:67], v[176:179]// 000000003AFC: D3E100B0 0EC28562
	buffer_load_dwordx4 a[224:227], v32, s[20:23], 0 offen     // 000000003B04: E05C1000 8085E020
	v_mfma_f32_16x16x16_bf16 v[176:179], a[100:101], v[68:69], v[176:179]// 000000003B0C: D3E100B0 0EC28964
	v_mfma_f32_16x16x16_bf16 v[176:179], a[102:103], v[70:71], v[176:179]// 000000003B14: D3E100B0 0EC28D66
	v_mfma_f32_16x16x16_bf16 v[176:179], a[104:105], v[72:73], v[176:179]// 000000003B1C: D3E100B0 0EC29168
	v_mfma_f32_16x16x16_bf16 v[176:179], a[106:107], v[74:75], v[176:179]// 000000003B24: D3E100B0 0EC2956A
	buffer_load_dwordx4 a[228:231], v32, s[20:23], 0 offen offset:1024// 000000003B2C: E05C1400 8085E420
	v_mfma_f32_16x16x16_bf16 v[176:179], a[108:109], v[76:77], v[176:179]// 000000003B34: D3E100B0 0EC2996C
	v_mfma_f32_16x16x16_bf16 v[176:179], a[110:111], v[78:79], v[176:179]// 000000003B3C: D3E100B0 0EC29D6E
	v_mfma_f32_16x16x16_bf16 v[180:183], a[96:97], v[80:81], v[180:183]// 000000003B44: D3E100B4 0ED2A160
	v_mfma_f32_16x16x16_bf16 v[180:183], a[98:99], v[82:83], v[180:183]// 000000003B4C: D3E100B4 0ED2A562
	buffer_load_dwordx4 a[232:235], v32, s[20:23], 0 offen offset:2048// 000000003B54: E05C1800 8085E820
	v_mfma_f32_16x16x16_bf16 v[180:183], a[100:101], v[84:85], v[180:183]// 000000003B5C: D3E100B4 0ED2A964
	v_mfma_f32_16x16x16_bf16 v[180:183], a[102:103], v[86:87], v[180:183]// 000000003B64: D3E100B4 0ED2AD66
	v_mfma_f32_16x16x16_bf16 v[180:183], a[104:105], v[88:89], v[180:183]// 000000003B6C: D3E100B4 0ED2B168
	v_mfma_f32_16x16x16_bf16 v[180:183], a[106:107], v[90:91], v[180:183]// 000000003B74: D3E100B4 0ED2B56A
	buffer_load_dwordx4 a[236:239], v32, s[20:23], 0 offen offset:3072// 000000003B7C: E05C1C00 8085EC20
	v_mfma_f32_16x16x16_bf16 v[180:183], a[108:109], v[92:93], v[180:183]// 000000003B84: D3E100B4 0ED2B96C
	v_mfma_f32_16x16x16_bf16 v[180:183], a[110:111], v[94:95], v[180:183]// 000000003B8C: D3E100B4 0ED2BD6E
	v_mfma_f32_16x16x16_bf16 v[184:187], a[112:113], v[64:65], v[184:187]// 000000003B94: D3E100B8 0EE28170
	v_mfma_f32_16x16x16_bf16 v[184:187], a[114:115], v[66:67], v[184:187]// 000000003B9C: D3E100B8 0EE28572
	buffer_load_dwordx4 a[240:243], v33, s[20:23], 0 offen     // 000000003BA4: E05C1000 8085F021
	v_mfma_f32_16x16x16_bf16 v[184:187], a[116:117], v[68:69], v[184:187]// 000000003BAC: D3E100B8 0EE28974
	v_mfma_f32_16x16x16_bf16 v[184:187], a[118:119], v[70:71], v[184:187]// 000000003BB4: D3E100B8 0EE28D76
	v_mfma_f32_16x16x16_bf16 v[184:187], a[120:121], v[72:73], v[184:187]// 000000003BBC: D3E100B8 0EE29178
	v_mfma_f32_16x16x16_bf16 v[184:187], a[122:123], v[74:75], v[184:187]// 000000003BC4: D3E100B8 0EE2957A
	buffer_load_dwordx4 a[244:247], v33, s[20:23], 0 offen offset:1024// 000000003BCC: E05C1400 8085F421
	v_mfma_f32_16x16x16_bf16 v[184:187], a[124:125], v[76:77], v[184:187]// 000000003BD4: D3E100B8 0EE2997C
	v_mfma_f32_16x16x16_bf16 v[184:187], a[126:127], v[78:79], v[184:187]// 000000003BDC: D3E100B8 0EE29D7E
	v_mfma_f32_16x16x16_bf16 v[188:191], a[112:113], v[80:81], v[188:191]// 000000003BE4: D3E100BC 0EF2A170
	v_mfma_f32_16x16x16_bf16 v[188:191], a[114:115], v[82:83], v[188:191]// 000000003BEC: D3E100BC 0EF2A572
	buffer_load_dwordx4 a[248:251], v33, s[20:23], 0 offen offset:2048// 000000003BF4: E05C1800 8085F821
	v_mfma_f32_16x16x16_bf16 v[188:191], a[116:117], v[84:85], v[188:191]// 000000003BFC: D3E100BC 0EF2A974
	v_mfma_f32_16x16x16_bf16 v[188:191], a[118:119], v[86:87], v[188:191]// 000000003C04: D3E100BC 0EF2AD76
	v_mfma_f32_16x16x16_bf16 v[188:191], a[120:121], v[88:89], v[188:191]// 000000003C0C: D3E100BC 0EF2B178
	v_mfma_f32_16x16x16_bf16 v[188:191], a[122:123], v[90:91], v[188:191]// 000000003C14: D3E100BC 0EF2B57A
	buffer_load_dwordx4 a[252:255], v33, s[20:23], 0 offen offset:3072// 000000003C1C: E05C1C00 8085FC21
	v_mfma_f32_16x16x16_bf16 v[188:191], a[124:125], v[92:93], v[188:191]// 000000003C24: D3E100BC 0EF2B97C
	s_add_u32 s20, s58, s20                                    // 000000003C2C: 8014143A
	s_addc_u32 s21, 0, s21                                     // 000000003C30: 82151580
	v_mfma_f32_16x16x16_bf16 v[188:191], a[126:127], v[94:95], v[188:191]// 000000003C34: D3E100BC 0EF2BD7E
	s_addk_i32 s80, 0x80                                       // 000000003C3C: B7500080
	s_cmp_lt_i32 s80, s81                                      // 000000003C40: BF045150
	s_cbranch_scc0 label_0516                                  // 000000003C44: BF840184
	s_waitcnt vmcnt(24) lgkmcnt(0)                             // 000000003C48: BF8C4078
	s_barrier                                                  // 000000003C4C: BF8A0000
	v_mfma_f32_16x16x16_bf16 v[128:131], a[128:129], v[96:97], v[128:131]// 000000003C50: D3E10080 0E02C180
	v_mfma_f32_16x16x16_bf16 v[128:131], a[130:131], v[98:99], v[128:131]// 000000003C58: D3E10080 0E02C582
	buffer_load_dwordx4 a[0:3], v26, s[20:23], 0 offen         // 000000003C60: E05C1000 8085001A
	v_mfma_f32_16x16x16_bf16 v[128:131], a[132:133], v[100:101], v[128:131]// 000000003C68: D3E10080 0E02C984
	v_mfma_f32_16x16x16_bf16 v[128:131], a[134:135], v[102:103], v[128:131]// 000000003C70: D3E10080 0E02CD86
	buffer_load_dword v10, s[16:19], 0 offen lds               // 000000003C78: E0511000 8004000A
	s_add_u32 m0, 0x100, s37                                   // 000000003C80: 807C25FF 00000100
	v_mfma_f32_16x16x16_bf16 v[128:131], a[136:137], v[104:105], v[128:131]// 000000003C88: D3E10080 0E02D188
	v_mfma_f32_16x16x16_bf16 v[128:131], a[138:139], v[106:107], v[128:131]// 000000003C90: D3E10080 0E02D58A
	buffer_load_dwordx4 a[4:7], v26, s[20:23], 0 offen offset:1024// 000000003C98: E05C1400 8085041A
	v_mfma_f32_16x16x16_bf16 v[128:131], a[140:141], v[108:109], v[128:131]// 000000003CA0: D3E10080 0E02D98C
	v_mfma_f32_16x16x16_bf16 v[128:131], a[142:143], v[110:111], v[128:131]// 000000003CA8: D3E10080 0E02DD8E
	buffer_load_dword v11, s[16:19], 0 offen lds               // 000000003CB0: E0511000 8004000B
	s_add_u32 m0, 0x200, s37                                   // 000000003CB8: 807C25FF 00000200
	v_mfma_f32_16x16x16_bf16 v[132:135], a[128:129], v[112:113], v[132:135]// 000000003CC0: D3E10084 0E12E180
	v_mfma_f32_16x16x16_bf16 v[132:135], a[130:131], v[114:115], v[132:135]// 000000003CC8: D3E10084 0E12E582
	buffer_load_dwordx4 a[8:11], v26, s[20:23], 0 offen offset:2048// 000000003CD0: E05C1800 8085081A
	v_mfma_f32_16x16x16_bf16 v[132:135], a[132:133], v[116:117], v[132:135]// 000000003CD8: D3E10084 0E12E984
	v_mfma_f32_16x16x16_bf16 v[132:135], a[134:135], v[118:119], v[132:135]// 000000003CE0: D3E10084 0E12ED86
	buffer_load_dword v12, s[16:19], 0 offen lds               // 000000003CE8: E0511000 8004000C
	s_add_u32 m0, 0x300, s37                                   // 000000003CF0: 807C25FF 00000300
	v_mfma_f32_16x16x16_bf16 v[132:135], a[136:137], v[120:121], v[132:135]// 000000003CF8: D3E10084 0E12F188
	v_mfma_f32_16x16x16_bf16 v[132:135], a[138:139], v[122:123], v[132:135]// 000000003D00: D3E10084 0E12F58A
	buffer_load_dwordx4 a[12:15], v26, s[20:23], 0 offen offset:3072// 000000003D08: E05C1C00 80850C1A
	v_mfma_f32_16x16x16_bf16 v[132:135], a[140:141], v[124:125], v[132:135]// 000000003D10: D3E10084 0E12F98C
	v_mfma_f32_16x16x16_bf16 v[132:135], a[142:143], v[126:127], v[132:135]// 000000003D18: D3E10084 0E12FD8E
	buffer_load_dword v13, s[16:19], 0 offen lds               // 000000003D20: E0511000 8004000D
	s_add_u32 m0, 0x400, s37                                   // 000000003D28: 807C25FF 00000400
	v_mfma_f32_16x16x16_bf16 v[136:139], a[144:145], v[96:97], v[136:139]// 000000003D30: D3E10088 0E22C190
	v_mfma_f32_16x16x16_bf16 v[136:139], a[146:147], v[98:99], v[136:139]// 000000003D38: D3E10088 0E22C592
	buffer_load_dwordx4 a[16:19], v27, s[20:23], 0 offen       // 000000003D40: E05C1000 8085101B
	v_mfma_f32_16x16x16_bf16 v[136:139], a[148:149], v[100:101], v[136:139]// 000000003D48: D3E10088 0E22C994
	v_mfma_f32_16x16x16_bf16 v[136:139], a[150:151], v[102:103], v[136:139]// 000000003D50: D3E10088 0E22CD96
	buffer_load_dword v14, s[16:19], 0 offen lds               // 000000003D58: E0511000 8004000E
	s_add_u32 m0, 0x500, s37                                   // 000000003D60: 807C25FF 00000500
	v_mfma_f32_16x16x16_bf16 v[136:139], a[152:153], v[104:105], v[136:139]// 000000003D68: D3E10088 0E22D198
	v_mfma_f32_16x16x16_bf16 v[136:139], a[154:155], v[106:107], v[136:139]// 000000003D70: D3E10088 0E22D59A
	buffer_load_dwordx4 a[20:23], v27, s[20:23], 0 offen offset:1024// 000000003D78: E05C1400 8085141B
	v_mfma_f32_16x16x16_bf16 v[136:139], a[156:157], v[108:109], v[136:139]// 000000003D80: D3E10088 0E22D99C
	v_mfma_f32_16x16x16_bf16 v[136:139], a[158:159], v[110:111], v[136:139]// 000000003D88: D3E10088 0E22DD9E
	buffer_load_dword v15, s[16:19], 0 offen lds               // 000000003D90: E0511000 8004000F
	s_add_u32 m0, 0x600, s37                                   // 000000003D98: 807C25FF 00000600
	v_mfma_f32_16x16x16_bf16 v[140:143], a[144:145], v[112:113], v[140:143]// 000000003DA0: D3E1008C 0E32E190
	v_mfma_f32_16x16x16_bf16 v[140:143], a[146:147], v[114:115], v[140:143]// 000000003DA8: D3E1008C 0E32E592
	buffer_load_dwordx4 a[24:27], v27, s[20:23], 0 offen offset:2048// 000000003DB0: E05C1800 8085181B
	v_mfma_f32_16x16x16_bf16 v[140:143], a[148:149], v[116:117], v[140:143]// 000000003DB8: D3E1008C 0E32E994
	v_mfma_f32_16x16x16_bf16 v[140:143], a[150:151], v[118:119], v[140:143]// 000000003DC0: D3E1008C 0E32ED96
	buffer_load_dword v16, s[16:19], 0 offen lds               // 000000003DC8: E0511000 80040010
	s_add_u32 m0, 0x700, s37                                   // 000000003DD0: 807C25FF 00000700
	v_mfma_f32_16x16x16_bf16 v[140:143], a[152:153], v[120:121], v[140:143]// 000000003DD8: D3E1008C 0E32F198
	v_mfma_f32_16x16x16_bf16 v[140:143], a[154:155], v[122:123], v[140:143]// 000000003DE0: D3E1008C 0E32F59A
	buffer_load_dwordx4 a[28:31], v27, s[20:23], 0 offen offset:3072// 000000003DE8: E05C1C00 80851C1B
	v_mfma_f32_16x16x16_bf16 v[140:143], a[156:157], v[124:125], v[140:143]// 000000003DF0: D3E1008C 0E32F99C
	v_mfma_f32_16x16x16_bf16 v[140:143], a[158:159], v[126:127], v[140:143]// 000000003DF8: D3E1008C 0E32FD9E
	buffer_load_dword v17, s[16:19], 0 offen lds               // 000000003E00: E0511000 80040011
	s_add_u32 m0, 0, s36                                       // 000000003E08: 807C2480
	s_waitcnt vmcnt(32)                                        // 000000003E0C: BF8C8F70
	v_mfma_f32_16x16x16_bf16 v[144:147], a[160:161], v[96:97], v[144:147]// 000000003E10: D3E10090 0E42C1A0
	v_mfma_f32_16x16x16_bf16 v[144:147], a[162:163], v[98:99], v[144:147]// 000000003E18: D3E10090 0E42C5A2
	buffer_load_dwordx4 a[32:35], v28, s[20:23], 0 offen       // 000000003E20: E05C1000 8085201C
	v_mfma_f32_16x16x16_bf16 v[144:147], a[164:165], v[100:101], v[144:147]// 000000003E28: D3E10090 0E42C9A4
	v_mfma_f32_16x16x16_bf16 v[144:147], a[166:167], v[102:103], v[144:147]// 000000003E30: D3E10090 0E42CDA6
	ds_read_b128 v[64:67], v2                                  // 000000003E38: D9FE0000 40000002
	v_mfma_f32_16x16x16_bf16 v[144:147], a[168:169], v[104:105], v[144:147]// 000000003E40: D3E10090 0E42D1A8
	v_mfma_f32_16x16x16_bf16 v[144:147], a[170:171], v[106:107], v[144:147]// 000000003E48: D3E10090 0E42D5AA
	buffer_load_dwordx4 a[36:39], v28, s[20:23], 0 offen offset:1024// 000000003E50: E05C1400 8085241C
	v_mfma_f32_16x16x16_bf16 v[144:147], a[172:173], v[108:109], v[144:147]// 000000003E58: D3E10090 0E42D9AC
	v_mfma_f32_16x16x16_bf16 v[144:147], a[174:175], v[110:111], v[144:147]// 000000003E60: D3E10090 0E42DDAE
	ds_read_b128 v[68:71], v2 offset:64                        // 000000003E68: D9FE0040 44000002
	v_mfma_f32_16x16x16_bf16 v[148:151], a[160:161], v[112:113], v[148:151]// 000000003E70: D3E10094 0E52E1A0
	v_mfma_f32_16x16x16_bf16 v[148:151], a[162:163], v[114:115], v[148:151]// 000000003E78: D3E10094 0E52E5A2
	buffer_load_dwordx4 a[40:43], v28, s[20:23], 0 offen offset:2048// 000000003E80: E05C1800 8085281C
	v_mfma_f32_16x16x16_bf16 v[148:151], a[164:165], v[116:117], v[148:151]// 000000003E88: D3E10094 0E52E9A4
	v_mfma_f32_16x16x16_bf16 v[148:151], a[166:167], v[118:119], v[148:151]// 000000003E90: D3E10094 0E52EDA6
	ds_read_b128 v[72:75], v2 offset:128                       // 000000003E98: D9FE0080 48000002
	v_mfma_f32_16x16x16_bf16 v[148:151], a[168:169], v[120:121], v[148:151]// 000000003EA0: D3E10094 0E52F1A8
	v_mfma_f32_16x16x16_bf16 v[148:151], a[170:171], v[122:123], v[148:151]// 000000003EA8: D3E10094 0E52F5AA
	buffer_load_dwordx4 a[44:47], v28, s[20:23], 0 offen offset:3072// 000000003EB0: E05C1C00 80852C1C
	v_mfma_f32_16x16x16_bf16 v[148:151], a[172:173], v[124:125], v[148:151]// 000000003EB8: D3E10094 0E52F9AC
	v_mfma_f32_16x16x16_bf16 v[148:151], a[174:175], v[126:127], v[148:151]// 000000003EC0: D3E10094 0E52FDAE
	ds_read_b128 v[76:79], v2 offset:192                       // 000000003EC8: D9FE00C0 4C000002
	v_mfma_f32_16x16x16_bf16 v[152:155], a[176:177], v[96:97], v[152:155]// 000000003ED0: D3E10098 0E62C1B0
	v_mfma_f32_16x16x16_bf16 v[152:155], a[178:179], v[98:99], v[152:155]// 000000003ED8: D3E10098 0E62C5B2
	buffer_load_dwordx4 a[48:51], v29, s[20:23], 0 offen       // 000000003EE0: E05C1000 8085301D
	v_mfma_f32_16x16x16_bf16 v[152:155], a[180:181], v[100:101], v[152:155]// 000000003EE8: D3E10098 0E62C9B4
	v_mfma_f32_16x16x16_bf16 v[152:155], a[182:183], v[102:103], v[152:155]// 000000003EF0: D3E10098 0E62CDB6
	ds_read_b128 v[80:83], v2 offset:1024                      // 000000003EF8: D9FE0400 50000002
	v_mfma_f32_16x16x16_bf16 v[152:155], a[184:185], v[104:105], v[152:155]// 000000003F00: D3E10098 0E62D1B8
	v_mfma_f32_16x16x16_bf16 v[152:155], a[186:187], v[106:107], v[152:155]// 000000003F08: D3E10098 0E62D5BA
	buffer_load_dwordx4 a[52:55], v29, s[20:23], 0 offen offset:1024// 000000003F10: E05C1400 8085341D
	v_mfma_f32_16x16x16_bf16 v[152:155], a[188:189], v[108:109], v[152:155]// 000000003F18: D3E10098 0E62D9BC
	v_mfma_f32_16x16x16_bf16 v[152:155], a[190:191], v[110:111], v[152:155]// 000000003F20: D3E10098 0E62DDBE
	ds_read_b128 v[84:87], v2 offset:1088                      // 000000003F28: D9FE0440 54000002
	v_mfma_f32_16x16x16_bf16 v[156:159], a[176:177], v[112:113], v[156:159]// 000000003F30: D3E1009C 0E72E1B0
	v_mfma_f32_16x16x16_bf16 v[156:159], a[178:179], v[114:115], v[156:159]// 000000003F38: D3E1009C 0E72E5B2
	buffer_load_dwordx4 a[56:59], v29, s[20:23], 0 offen offset:2048// 000000003F40: E05C1800 8085381D
	v_mfma_f32_16x16x16_bf16 v[156:159], a[180:181], v[116:117], v[156:159]// 000000003F48: D3E1009C 0E72E9B4
	v_mfma_f32_16x16x16_bf16 v[156:159], a[182:183], v[118:119], v[156:159]// 000000003F50: D3E1009C 0E72EDB6
	ds_read_b128 v[88:91], v2 offset:1152                      // 000000003F58: D9FE0480 58000002
	v_mfma_f32_16x16x16_bf16 v[156:159], a[184:185], v[120:121], v[156:159]// 000000003F60: D3E1009C 0E72F1B8
	v_mfma_f32_16x16x16_bf16 v[156:159], a[186:187], v[122:123], v[156:159]// 000000003F68: D3E1009C 0E72F5BA
	buffer_load_dwordx4 a[60:63], v29, s[20:23], 0 offen offset:3072// 000000003F70: E05C1C00 80853C1D
	v_mfma_f32_16x16x16_bf16 v[156:159], a[188:189], v[124:125], v[156:159]// 000000003F78: D3E1009C 0E72F9BC
	v_mfma_f32_16x16x16_bf16 v[156:159], a[190:191], v[126:127], v[156:159]// 000000003F80: D3E1009C 0E72FDBE
	ds_read_b128 v[92:95], v2 offset:1216                      // 000000003F88: D9FE04C0 5C000002
	s_waitcnt vmcnt(32)                                        // 000000003F90: BF8C8F70
	v_mfma_f32_16x16x16_bf16 v[160:163], a[192:193], v[96:97], v[160:163]// 000000003F94: D3E100A0 0E82C1C0
	v_mfma_f32_16x16x16_bf16 v[160:163], a[194:195], v[98:99], v[160:163]// 000000003F9C: D3E100A0 0E82C5C2
	buffer_load_dwordx4 a[64:67], v30, s[20:23], 0 offen       // 000000003FA4: E05C1000 8085401E
	v_mfma_f32_16x16x16_bf16 v[160:163], a[196:197], v[100:101], v[160:163]// 000000003FAC: D3E100A0 0E82C9C4
	s_add_u32 s60, 0x180, s80                                  // 000000003FB4: 803C50FF 00000180
	s_cmp_lt_u32 s60, s81                                      // 000000003FBC: BF0A513C
	s_cselect_b32 s57, s57, 0                                  // 000000003FC0: 85398039
	v_mfma_f32_16x16x16_bf16 v[160:163], a[198:199], v[102:103], v[160:163]// 000000003FC4: D3E100A0 0E82CDC6
	v_mfma_f32_16x16x16_bf16 v[160:163], a[200:201], v[104:105], v[160:163]// 000000003FCC: D3E100A0 0E82D1C8
	v_mfma_f32_16x16x16_bf16 v[160:163], a[202:203], v[106:107], v[160:163]// 000000003FD4: D3E100A0 0E82D5CA
	buffer_load_dwordx4 a[68:71], v30, s[20:23], 0 offen offset:1024// 000000003FDC: E05C1400 8085441E
	v_mfma_f32_16x16x16_bf16 v[160:163], a[204:205], v[108:109], v[160:163]// 000000003FE4: D3E100A0 0E82D9CC
	s_add_u32 s60, 0x100, s80                                  // 000000003FEC: 803C50FF 00000100
	s_cmp_lt_u32 s60, s81                                      // 000000003FF4: BF0A513C
	s_cselect_b32 s58, s58, 0                                  // 000000003FF8: 853A803A
	v_mfma_f32_16x16x16_bf16 v[160:163], a[206:207], v[110:111], v[160:163]// 000000003FFC: D3E100A0 0E82DDCE
	v_mfma_f32_16x16x16_bf16 v[164:167], a[192:193], v[112:113], v[164:167]// 000000004004: D3E100A4 0E92E1C0
	v_mfma_f32_16x16x16_bf16 v[164:167], a[194:195], v[114:115], v[164:167]// 00000000400C: D3E100A4 0E92E5C2
	buffer_load_dwordx4 a[72:75], v30, s[20:23], 0 offen offset:2048// 000000004014: E05C1800 8085481E
	v_mfma_f32_16x16x16_bf16 v[164:167], a[196:197], v[116:117], v[164:167]// 00000000401C: D3E100A4 0E92E9C4
	s_add_u32 s16, s57, s16                                    // 000000004024: 80101039
	s_addc_u32 s17, 0, s17                                     // 000000004028: 82111180
	v_mfma_f32_16x16x16_bf16 v[164:167], a[198:199], v[118:119], v[164:167]// 00000000402C: D3E100A4 0E92EDC6
	v_mfma_f32_16x16x16_bf16 v[164:167], a[200:201], v[120:121], v[164:167]// 000000004034: D3E100A4 0E92F1C8
	v_mfma_f32_16x16x16_bf16 v[164:167], a[202:203], v[122:123], v[164:167]// 00000000403C: D3E100A4 0E92F5CA
	buffer_load_dwordx4 a[76:79], v30, s[20:23], 0 offen offset:3072// 000000004044: E05C1C00 80854C1E
	v_mfma_f32_16x16x16_bf16 v[164:167], a[204:205], v[124:125], v[164:167]// 00000000404C: D3E100A4 0E92F9CC
	v_mfma_f32_16x16x16_bf16 v[164:167], a[206:207], v[126:127], v[164:167]// 000000004054: D3E100A4 0E92FDCE
	v_mfma_f32_16x16x16_bf16 v[168:171], a[208:209], v[96:97], v[168:171]// 00000000405C: D3E100A8 0EA2C1D0
	v_mfma_f32_16x16x16_bf16 v[168:171], a[210:211], v[98:99], v[168:171]// 000000004064: D3E100A8 0EA2C5D2
	buffer_load_dwordx4 a[80:83], v31, s[20:23], 0 offen       // 00000000406C: E05C1000 8085501F
	v_mfma_f32_16x16x16_bf16 v[168:171], a[212:213], v[100:101], v[168:171]// 000000004074: D3E100A8 0EA2C9D4
	v_mfma_f32_16x16x16_bf16 v[168:171], a[214:215], v[102:103], v[168:171]// 00000000407C: D3E100A8 0EA2CDD6
	v_mfma_f32_16x16x16_bf16 v[168:171], a[216:217], v[104:105], v[168:171]// 000000004084: D3E100A8 0EA2D1D8
	v_mfma_f32_16x16x16_bf16 v[168:171], a[218:219], v[106:107], v[168:171]// 00000000408C: D3E100A8 0EA2D5DA
	buffer_load_dwordx4 a[84:87], v31, s[20:23], 0 offen offset:1024// 000000004094: E05C1400 8085541F
	v_mfma_f32_16x16x16_bf16 v[168:171], a[220:221], v[108:109], v[168:171]// 00000000409C: D3E100A8 0EA2D9DC
	v_mfma_f32_16x16x16_bf16 v[168:171], a[222:223], v[110:111], v[168:171]// 0000000040A4: D3E100A8 0EA2DDDE
	v_mfma_f32_16x16x16_bf16 v[172:175], a[208:209], v[112:113], v[172:175]// 0000000040AC: D3E100AC 0EB2E1D0
	v_mfma_f32_16x16x16_bf16 v[172:175], a[210:211], v[114:115], v[172:175]// 0000000040B4: D3E100AC 0EB2E5D2
	buffer_load_dwordx4 a[88:91], v31, s[20:23], 0 offen offset:2048// 0000000040BC: E05C1800 8085581F
	v_mfma_f32_16x16x16_bf16 v[172:175], a[212:213], v[116:117], v[172:175]// 0000000040C4: D3E100AC 0EB2E9D4
	v_mfma_f32_16x16x16_bf16 v[172:175], a[214:215], v[118:119], v[172:175]// 0000000040CC: D3E100AC 0EB2EDD6
	v_mfma_f32_16x16x16_bf16 v[172:175], a[216:217], v[120:121], v[172:175]// 0000000040D4: D3E100AC 0EB2F1D8
	v_mfma_f32_16x16x16_bf16 v[172:175], a[218:219], v[122:123], v[172:175]// 0000000040DC: D3E100AC 0EB2F5DA
	buffer_load_dwordx4 a[92:95], v31, s[20:23], 0 offen offset:3072// 0000000040E4: E05C1C00 80855C1F
	v_mfma_f32_16x16x16_bf16 v[172:175], a[220:221], v[124:125], v[172:175]// 0000000040EC: D3E100AC 0EB2F9DC
	v_mfma_f32_16x16x16_bf16 v[172:175], a[222:223], v[126:127], v[172:175]// 0000000040F4: D3E100AC 0EB2FDDE
	s_waitcnt vmcnt(32)                                        // 0000000040FC: BF8C8F70
	v_mfma_f32_16x16x16_bf16 v[176:179], a[224:225], v[96:97], v[176:179]// 000000004100: D3E100B0 0EC2C1E0
	v_mfma_f32_16x16x16_bf16 v[176:179], a[226:227], v[98:99], v[176:179]// 000000004108: D3E100B0 0EC2C5E2
	buffer_load_dwordx4 a[96:99], v32, s[20:23], 0 offen       // 000000004110: E05C1000 80856020
	v_mfma_f32_16x16x16_bf16 v[176:179], a[228:229], v[100:101], v[176:179]// 000000004118: D3E100B0 0EC2C9E4
	v_mfma_f32_16x16x16_bf16 v[176:179], a[230:231], v[102:103], v[176:179]// 000000004120: D3E100B0 0EC2CDE6
	v_mfma_f32_16x16x16_bf16 v[176:179], a[232:233], v[104:105], v[176:179]// 000000004128: D3E100B0 0EC2D1E8
	v_mfma_f32_16x16x16_bf16 v[176:179], a[234:235], v[106:107], v[176:179]// 000000004130: D3E100B0 0EC2D5EA
	buffer_load_dwordx4 a[100:103], v32, s[20:23], 0 offen offset:1024// 000000004138: E05C1400 80856420
	v_mfma_f32_16x16x16_bf16 v[176:179], a[236:237], v[108:109], v[176:179]// 000000004140: D3E100B0 0EC2D9EC
	v_mfma_f32_16x16x16_bf16 v[176:179], a[238:239], v[110:111], v[176:179]// 000000004148: D3E100B0 0EC2DDEE
	v_mfma_f32_16x16x16_bf16 v[180:183], a[224:225], v[112:113], v[180:183]// 000000004150: D3E100B4 0ED2E1E0
	v_mfma_f32_16x16x16_bf16 v[180:183], a[226:227], v[114:115], v[180:183]// 000000004158: D3E100B4 0ED2E5E2
	buffer_load_dwordx4 a[104:107], v32, s[20:23], 0 offen offset:2048// 000000004160: E05C1800 80856820
	v_mfma_f32_16x16x16_bf16 v[180:183], a[228:229], v[116:117], v[180:183]// 000000004168: D3E100B4 0ED2E9E4
	v_mfma_f32_16x16x16_bf16 v[180:183], a[230:231], v[118:119], v[180:183]// 000000004170: D3E100B4 0ED2EDE6
	v_mfma_f32_16x16x16_bf16 v[180:183], a[232:233], v[120:121], v[180:183]// 000000004178: D3E100B4 0ED2F1E8
	v_mfma_f32_16x16x16_bf16 v[180:183], a[234:235], v[122:123], v[180:183]// 000000004180: D3E100B4 0ED2F5EA
	buffer_load_dwordx4 a[108:111], v32, s[20:23], 0 offen offset:3072// 000000004188: E05C1C00 80856C20
	v_mfma_f32_16x16x16_bf16 v[180:183], a[236:237], v[124:125], v[180:183]// 000000004190: D3E100B4 0ED2F9EC
	v_mfma_f32_16x16x16_bf16 v[180:183], a[238:239], v[126:127], v[180:183]// 000000004198: D3E100B4 0ED2FDEE
	v_mfma_f32_16x16x16_bf16 v[184:187], a[240:241], v[96:97], v[184:187]// 0000000041A0: D3E100B8 0EE2C1F0
	v_mfma_f32_16x16x16_bf16 v[184:187], a[242:243], v[98:99], v[184:187]// 0000000041A8: D3E100B8 0EE2C5F2
	buffer_load_dwordx4 a[112:115], v33, s[20:23], 0 offen     // 0000000041B0: E05C1000 80857021
	v_mfma_f32_16x16x16_bf16 v[184:187], a[244:245], v[100:101], v[184:187]// 0000000041B8: D3E100B8 0EE2C9F4
	v_mfma_f32_16x16x16_bf16 v[184:187], a[246:247], v[102:103], v[184:187]// 0000000041C0: D3E100B8 0EE2CDF6
	v_mfma_f32_16x16x16_bf16 v[184:187], a[248:249], v[104:105], v[184:187]// 0000000041C8: D3E100B8 0EE2D1F8
	v_mfma_f32_16x16x16_bf16 v[184:187], a[250:251], v[106:107], v[184:187]// 0000000041D0: D3E100B8 0EE2D5FA
	buffer_load_dwordx4 a[116:119], v33, s[20:23], 0 offen offset:1024// 0000000041D8: E05C1400 80857421
	v_mfma_f32_16x16x16_bf16 v[184:187], a[252:253], v[108:109], v[184:187]// 0000000041E0: D3E100B8 0EE2D9FC
	v_mfma_f32_16x16x16_bf16 v[184:187], a[254:255], v[110:111], v[184:187]// 0000000041E8: D3E100B8 0EE2DDFE
	v_mfma_f32_16x16x16_bf16 v[188:191], a[240:241], v[112:113], v[188:191]// 0000000041F0: D3E100BC 0EF2E1F0
	v_mfma_f32_16x16x16_bf16 v[188:191], a[242:243], v[114:115], v[188:191]// 0000000041F8: D3E100BC 0EF2E5F2
	buffer_load_dwordx4 a[120:123], v33, s[20:23], 0 offen offset:2048// 000000004200: E05C1800 80857821
	v_mfma_f32_16x16x16_bf16 v[188:191], a[244:245], v[116:117], v[188:191]// 000000004208: D3E100BC 0EF2E9F4
	v_mfma_f32_16x16x16_bf16 v[188:191], a[246:247], v[118:119], v[188:191]// 000000004210: D3E100BC 0EF2EDF6
	v_mfma_f32_16x16x16_bf16 v[188:191], a[248:249], v[120:121], v[188:191]// 000000004218: D3E100BC 0EF2F1F8
	v_mfma_f32_16x16x16_bf16 v[188:191], a[250:251], v[122:123], v[188:191]// 000000004220: D3E100BC 0EF2F5FA
	buffer_load_dwordx4 a[124:127], v33, s[20:23], 0 offen offset:3072// 000000004228: E05C1C00 80857C21
	v_mfma_f32_16x16x16_bf16 v[188:191], a[252:253], v[124:125], v[188:191]// 000000004230: D3E100BC 0EF2F9FC
	s_add_u32 s20, s58, s20                                    // 000000004238: 8014143A
	s_addc_u32 s21, 0, s21                                     // 00000000423C: 82151580
	v_mfma_f32_16x16x16_bf16 v[188:191], a[254:255], v[126:127], v[188:191]// 000000004240: D3E100BC 0EF2FDFE
	s_addk_i32 s80, 0x80                                       // 000000004248: B7500080
	s_cmp_lt_i32 s80, s81                                      // 00000000424C: BF045150
	s_cbranch_scc0 label_0516                                  // 000000004250: BF840001
	s_branch label_020F                                        // 000000004254: BF82FCF9

0000000000004258 <label_0516>:
	s_mov_b32 s38, -1                                          // 000000004258: BEA600C1
	s_mov_b32 s39, -1                                          // 00000000425C: BEA700C1
	s_mov_b64 s[60:61], 0                                      // 000000004260: BEBC0180
	s_cmp_lt_u32 s82, s66                                      // 000000004264: BF0A4252
	s_cselect_b64 s[16:17], s[38:39], s[60:61]                 // 000000004268: 85903C26
	s_cmp_lt_u32 s83, s66                                      // 00000000426C: BF0A4253
	s_cselect_b64 s[18:19], s[38:39], s[60:61]                 // 000000004270: 85923C26
	s_cmp_lt_u32 s84, s66                                      // 000000004274: BF0A4254
	s_cselect_b64 s[20:21], s[38:39], s[60:61]                 // 000000004278: 85943C26
	s_cmp_lt_u32 s85, s66                                      // 00000000427C: BF0A4255
	s_cselect_b64 s[22:23], s[38:39], s[60:61]                 // 000000004280: 85963C26
	s_cmp_lt_u32 s86, s66                                      // 000000004284: BF0A4256
	s_cselect_b64 s[24:25], s[38:39], s[60:61]                 // 000000004288: 85983C26
	s_cmp_lt_u32 s87, s66                                      // 00000000428C: BF0A4257
	s_cselect_b64 s[26:27], s[38:39], s[60:61]                 // 000000004290: 859A3C26
	s_cmp_lt_u32 s88, s66                                      // 000000004294: BF0A4258
	s_cselect_b64 s[28:29], s[38:39], s[60:61]                 // 000000004298: 859C3C26
	s_cmp_lt_u32 s89, s66                                      // 00000000429C: BF0A4259
	s_cselect_b64 s[30:31], s[38:39], s[60:61]                 // 0000000042A0: 859E3C26
	s_waitcnt vmcnt(24)                                        // 0000000042A4: BF8C4F78
	buffer_load_dwordx4 a[0:3], v18, s[12:15], 0 offen         // 0000000042A8: E05C1000 80830012
	v_mul_f32_e32 v54, v128, v128                              // 0000000042B0: 0A6D0180
	v_mul_f32_e32 v55, v129, v129                              // 0000000042B4: 0A6F0381
	v_mul_f32_e32 v56, v130, v130                              // 0000000042B8: 0A710582
	v_mul_f32_e32 v57, v131, v131                              // 0000000042BC: 0A730783
	v_fma_f32 v54, v54, s77, v5                                // 0000000042C0: D1CB0036 04149B36
	v_fma_f32 v55, v55, s77, v5                                // 0000000042C8: D1CB0037 04149B37
	v_fma_f32 v56, v56, s77, v5                                // 0000000042D0: D1CB0038 04149B38
	v_fma_f32 v57, v57, s77, v5                                // 0000000042D8: D1CB0039 04149B39
	v_mul_f32_e32 v54, v54, v128                               // 0000000042E0: 0A6D0136
	v_mul_f32_e32 v55, v55, v129                               // 0000000042E4: 0A6F0337
	v_mul_f32_e32 v56, v56, v130                               // 0000000042E8: 0A710538
	v_mul_f32_e32 v57, v57, v131                               // 0000000042EC: 0A730739
	v_mul_f32_e64 v54, v54, s6                                 // 0000000042F0: D1050036 00000D36
	v_mul_f32_e64 v55, v55, s6                                 // 0000000042F8: D1050037 00000D37
	v_mul_f32_e64 v56, v56, s6                                 // 000000004300: D1050038 00000D38
	v_mul_f32_e64 v57, v57, s6                                 // 000000004308: D1050039 00000D39
	v_exp_f32_e32 v54, v54                                     // 000000004310: 7E6C4136
	v_exp_f32_e32 v55, v55                                     // 000000004314: 7E6E4137
	v_exp_f32_e32 v56, v56                                     // 000000004318: 7E704138
	v_exp_f32_e32 v57, v57                                     // 00000000431C: 7E724139
	buffer_load_dwordx4 a[4:7], v18, s[12:15], 0 offen offset:1024// 000000004320: E05C1400 80830412
	v_add_f32_e64 v54, v54, 1.0                                // 000000004328: D1010036 0001E536
	v_add_f32_e64 v55, v55, 1.0                                // 000000004330: D1010037 0001E537
	v_add_f32_e64 v56, v56, 1.0                                // 000000004338: D1010038 0001E538
	v_add_f32_e64 v57, v57, 1.0                                // 000000004340: D1010039 0001E539
	v_rcp_f32_e32 v54, v54                                     // 000000004348: 7E6C4536
	v_rcp_f32_e32 v55, v55                                     // 00000000434C: 7E6E4537
	v_rcp_f32_e32 v56, v56                                     // 000000004350: 7E704538
	v_rcp_f32_e32 v57, v57                                     // 000000004354: 7E724539
	v_mul_f32_e32 v128, v128, v54                              // 000000004358: 0B006D80
	v_mul_f32_e32 v129, v129, v55                              // 00000000435C: 0B026F81
	v_mul_f32_e32 v130, v130, v56                              // 000000004360: 0B047182
	v_mul_f32_e32 v131, v131, v57                              // 000000004364: 0B067383
	buffer_load_dwordx4 a[8:11], v18, s[12:15], 0 offen offset:2048// 000000004368: E05C1800 80830812
	v_mul_f32_e32 v54, v132, v132                              // 000000004370: 0A6D0984
	v_mul_f32_e32 v55, v133, v133                              // 000000004374: 0A6F0B85
	v_mul_f32_e32 v56, v134, v134                              // 000000004378: 0A710D86
	v_mul_f32_e32 v57, v135, v135                              // 00000000437C: 0A730F87
	v_fma_f32 v54, v54, s77, v5                                // 000000004380: D1CB0036 04149B36
	v_fma_f32 v55, v55, s77, v5                                // 000000004388: D1CB0037 04149B37
	v_fma_f32 v56, v56, s77, v5                                // 000000004390: D1CB0038 04149B38
	v_fma_f32 v57, v57, s77, v5                                // 000000004398: D1CB0039 04149B39
	v_mul_f32_e32 v54, v54, v132                               // 0000000043A0: 0A6D0936
	v_mul_f32_e32 v55, v55, v133                               // 0000000043A4: 0A6F0B37
	v_mul_f32_e32 v56, v56, v134                               // 0000000043A8: 0A710D38
	v_mul_f32_e32 v57, v57, v135                               // 0000000043AC: 0A730F39
	v_mul_f32_e64 v54, v54, s6                                 // 0000000043B0: D1050036 00000D36
	v_mul_f32_e64 v55, v55, s6                                 // 0000000043B8: D1050037 00000D37
	v_mul_f32_e64 v56, v56, s6                                 // 0000000043C0: D1050038 00000D38
	v_mul_f32_e64 v57, v57, s6                                 // 0000000043C8: D1050039 00000D39
	v_exp_f32_e32 v54, v54                                     // 0000000043D0: 7E6C4136
	v_exp_f32_e32 v55, v55                                     // 0000000043D4: 7E6E4137
	v_exp_f32_e32 v56, v56                                     // 0000000043D8: 7E704138
	v_exp_f32_e32 v57, v57                                     // 0000000043DC: 7E724139
	buffer_load_dwordx4 a[12:15], v18, s[12:15], 0 offen offset:3072// 0000000043E0: E05C1C00 80830C12
	v_add_f32_e64 v54, v54, 1.0                                // 0000000043E8: D1010036 0001E536
	v_add_f32_e64 v55, v55, 1.0                                // 0000000043F0: D1010037 0001E537
	v_add_f32_e64 v56, v56, 1.0                                // 0000000043F8: D1010038 0001E538
	v_add_f32_e64 v57, v57, 1.0                                // 000000004400: D1010039 0001E539
	v_rcp_f32_e32 v54, v54                                     // 000000004408: 7E6C4536
	v_rcp_f32_e32 v55, v55                                     // 00000000440C: 7E6E4537
	v_rcp_f32_e32 v56, v56                                     // 000000004410: 7E704538
	v_rcp_f32_e32 v57, v57                                     // 000000004414: 7E724539
	v_mul_f32_e32 v132, v132, v54                              // 000000004418: 0B086D84
	v_mul_f32_e32 v133, v133, v55                              // 00000000441C: 0B0A6F85
	v_mul_f32_e32 v134, v134, v56                              // 000000004420: 0B0C7186
	v_mul_f32_e32 v135, v135, v57                              // 000000004424: 0B0E7387
	buffer_load_dwordx4 a[16:19], v19, s[12:15], 0 offen       // 000000004428: E05C1000 80831013
	v_mul_f32_e32 v54, v136, v136                              // 000000004430: 0A6D1188
	v_mul_f32_e32 v55, v137, v137                              // 000000004434: 0A6F1389
	v_mul_f32_e32 v56, v138, v138                              // 000000004438: 0A71158A
	v_mul_f32_e32 v57, v139, v139                              // 00000000443C: 0A73178B
	v_fma_f32 v54, v54, s77, v5                                // 000000004440: D1CB0036 04149B36
	v_fma_f32 v55, v55, s77, v5                                // 000000004448: D1CB0037 04149B37
	v_fma_f32 v56, v56, s77, v5                                // 000000004450: D1CB0038 04149B38
	v_fma_f32 v57, v57, s77, v5                                // 000000004458: D1CB0039 04149B39
	v_mul_f32_e32 v54, v54, v136                               // 000000004460: 0A6D1136
	v_mul_f32_e32 v55, v55, v137                               // 000000004464: 0A6F1337
	v_mul_f32_e32 v56, v56, v138                               // 000000004468: 0A711538
	v_mul_f32_e32 v57, v57, v139                               // 00000000446C: 0A731739
	v_mul_f32_e64 v54, v54, s6                                 // 000000004470: D1050036 00000D36
	v_mul_f32_e64 v55, v55, s6                                 // 000000004478: D1050037 00000D37
	v_mul_f32_e64 v56, v56, s6                                 // 000000004480: D1050038 00000D38
	v_mul_f32_e64 v57, v57, s6                                 // 000000004488: D1050039 00000D39
	v_exp_f32_e32 v54, v54                                     // 000000004490: 7E6C4136
	v_exp_f32_e32 v55, v55                                     // 000000004494: 7E6E4137
	v_exp_f32_e32 v56, v56                                     // 000000004498: 7E704138
	v_exp_f32_e32 v57, v57                                     // 00000000449C: 7E724139
	buffer_load_dwordx4 a[20:23], v19, s[12:15], 0 offen offset:1024// 0000000044A0: E05C1400 80831413
	v_add_f32_e64 v54, v54, 1.0                                // 0000000044A8: D1010036 0001E536
	v_add_f32_e64 v55, v55, 1.0                                // 0000000044B0: D1010037 0001E537
	v_add_f32_e64 v56, v56, 1.0                                // 0000000044B8: D1010038 0001E538
	v_add_f32_e64 v57, v57, 1.0                                // 0000000044C0: D1010039 0001E539
	v_rcp_f32_e32 v54, v54                                     // 0000000044C8: 7E6C4536
	v_rcp_f32_e32 v55, v55                                     // 0000000044CC: 7E6E4537
	v_rcp_f32_e32 v56, v56                                     // 0000000044D0: 7E704538
	v_rcp_f32_e32 v57, v57                                     // 0000000044D4: 7E724539
	v_mul_f32_e32 v136, v136, v54                              // 0000000044D8: 0B106D88
	v_mul_f32_e32 v137, v137, v55                              // 0000000044DC: 0B126F89
	v_mul_f32_e32 v138, v138, v56                              // 0000000044E0: 0B14718A
	v_mul_f32_e32 v139, v139, v57                              // 0000000044E4: 0B16738B
	buffer_load_dwordx4 a[24:27], v19, s[12:15], 0 offen offset:2048// 0000000044E8: E05C1800 80831813
	v_mul_f32_e32 v54, v140, v140                              // 0000000044F0: 0A6D198C
	v_mul_f32_e32 v55, v141, v141                              // 0000000044F4: 0A6F1B8D
	v_mul_f32_e32 v56, v142, v142                              // 0000000044F8: 0A711D8E
	v_mul_f32_e32 v57, v143, v143                              // 0000000044FC: 0A731F8F
	v_fma_f32 v54, v54, s77, v5                                // 000000004500: D1CB0036 04149B36
	v_fma_f32 v55, v55, s77, v5                                // 000000004508: D1CB0037 04149B37
	v_fma_f32 v56, v56, s77, v5                                // 000000004510: D1CB0038 04149B38
	v_fma_f32 v57, v57, s77, v5                                // 000000004518: D1CB0039 04149B39
	v_mul_f32_e32 v54, v54, v140                               // 000000004520: 0A6D1936
	v_mul_f32_e32 v55, v55, v141                               // 000000004524: 0A6F1B37
	v_mul_f32_e32 v56, v56, v142                               // 000000004528: 0A711D38
	v_mul_f32_e32 v57, v57, v143                               // 00000000452C: 0A731F39
	v_mul_f32_e64 v54, v54, s6                                 // 000000004530: D1050036 00000D36
	v_mul_f32_e64 v55, v55, s6                                 // 000000004538: D1050037 00000D37
	v_mul_f32_e64 v56, v56, s6                                 // 000000004540: D1050038 00000D38
	v_mul_f32_e64 v57, v57, s6                                 // 000000004548: D1050039 00000D39
	v_exp_f32_e32 v54, v54                                     // 000000004550: 7E6C4136
	v_exp_f32_e32 v55, v55                                     // 000000004554: 7E6E4137
	v_exp_f32_e32 v56, v56                                     // 000000004558: 7E704138
	v_exp_f32_e32 v57, v57                                     // 00000000455C: 7E724139
	buffer_load_dwordx4 a[28:31], v19, s[12:15], 0 offen offset:3072// 000000004560: E05C1C00 80831C13
	v_add_f32_e64 v54, v54, 1.0                                // 000000004568: D1010036 0001E536
	v_add_f32_e64 v55, v55, 1.0                                // 000000004570: D1010037 0001E537
	v_add_f32_e64 v56, v56, 1.0                                // 000000004578: D1010038 0001E538
	v_add_f32_e64 v57, v57, 1.0                                // 000000004580: D1010039 0001E539
	v_rcp_f32_e32 v54, v54                                     // 000000004588: 7E6C4536
	v_rcp_f32_e32 v55, v55                                     // 00000000458C: 7E6E4537
	v_rcp_f32_e32 v56, v56                                     // 000000004590: 7E704538
	v_rcp_f32_e32 v57, v57                                     // 000000004594: 7E724539
	v_mul_f32_e32 v140, v140, v54                              // 000000004598: 0B186D8C
	v_mul_f32_e32 v141, v141, v55                              // 00000000459C: 0B1A6F8D
	v_mul_f32_e32 v142, v142, v56                              // 0000000045A0: 0B1C718E
	v_mul_f32_e32 v143, v143, v57                              // 0000000045A4: 0B1E738F
	s_waitcnt vmcnt(24)                                        // 0000000045A8: BF8C4F78
	buffer_load_dwordx4 a[32:35], v20, s[12:15], 0 offen       // 0000000045AC: E05C1000 80832014
	v_mul_f32_e32 v54, v144, v144                              // 0000000045B4: 0A6D2190
	v_mul_f32_e32 v55, v145, v145                              // 0000000045B8: 0A6F2391
	v_mul_f32_e32 v56, v146, v146                              // 0000000045BC: 0A712592
	v_mul_f32_e32 v57, v147, v147                              // 0000000045C0: 0A732793
	v_fma_f32 v54, v54, s77, v5                                // 0000000045C4: D1CB0036 04149B36
	v_fma_f32 v55, v55, s77, v5                                // 0000000045CC: D1CB0037 04149B37
	v_fma_f32 v56, v56, s77, v5                                // 0000000045D4: D1CB0038 04149B38
	v_fma_f32 v57, v57, s77, v5                                // 0000000045DC: D1CB0039 04149B39
	v_mul_f32_e32 v54, v54, v144                               // 0000000045E4: 0A6D2136
	v_mul_f32_e32 v55, v55, v145                               // 0000000045E8: 0A6F2337
	v_mul_f32_e32 v56, v56, v146                               // 0000000045EC: 0A712538
	v_mul_f32_e32 v57, v57, v147                               // 0000000045F0: 0A732739
	v_mul_f32_e64 v54, v54, s6                                 // 0000000045F4: D1050036 00000D36
	v_mul_f32_e64 v55, v55, s6                                 // 0000000045FC: D1050037 00000D37
	v_mul_f32_e64 v56, v56, s6                                 // 000000004604: D1050038 00000D38
	v_mul_f32_e64 v57, v57, s6                                 // 00000000460C: D1050039 00000D39
	v_exp_f32_e32 v54, v54                                     // 000000004614: 7E6C4136
	v_exp_f32_e32 v55, v55                                     // 000000004618: 7E6E4137
	v_exp_f32_e32 v56, v56                                     // 00000000461C: 7E704138
	v_exp_f32_e32 v57, v57                                     // 000000004620: 7E724139
	buffer_load_dwordx4 a[36:39], v20, s[12:15], 0 offen offset:1024// 000000004624: E05C1400 80832414
	v_add_f32_e64 v54, v54, 1.0                                // 00000000462C: D1010036 0001E536
	v_add_f32_e64 v55, v55, 1.0                                // 000000004634: D1010037 0001E537
	v_add_f32_e64 v56, v56, 1.0                                // 00000000463C: D1010038 0001E538
	v_add_f32_e64 v57, v57, 1.0                                // 000000004644: D1010039 0001E539
	v_rcp_f32_e32 v54, v54                                     // 00000000464C: 7E6C4536
	v_rcp_f32_e32 v55, v55                                     // 000000004650: 7E6E4537
	v_rcp_f32_e32 v56, v56                                     // 000000004654: 7E704538
	v_rcp_f32_e32 v57, v57                                     // 000000004658: 7E724539
	v_mul_f32_e32 v144, v144, v54                              // 00000000465C: 0B206D90
	v_mul_f32_e32 v145, v145, v55                              // 000000004660: 0B226F91
	v_mul_f32_e32 v146, v146, v56                              // 000000004664: 0B247192
	v_mul_f32_e32 v147, v147, v57                              // 000000004668: 0B267393
	buffer_load_dwordx4 a[40:43], v20, s[12:15], 0 offen offset:2048// 00000000466C: E05C1800 80832814
	v_mul_f32_e32 v54, v148, v148                              // 000000004674: 0A6D2994
	v_mul_f32_e32 v55, v149, v149                              // 000000004678: 0A6F2B95
	v_mul_f32_e32 v56, v150, v150                              // 00000000467C: 0A712D96
	v_mul_f32_e32 v57, v151, v151                              // 000000004680: 0A732F97
	v_fma_f32 v54, v54, s77, v5                                // 000000004684: D1CB0036 04149B36
	v_fma_f32 v55, v55, s77, v5                                // 00000000468C: D1CB0037 04149B37
	v_fma_f32 v56, v56, s77, v5                                // 000000004694: D1CB0038 04149B38
	v_fma_f32 v57, v57, s77, v5                                // 00000000469C: D1CB0039 04149B39
	v_mul_f32_e32 v54, v54, v148                               // 0000000046A4: 0A6D2936
	v_mul_f32_e32 v55, v55, v149                               // 0000000046A8: 0A6F2B37
	v_mul_f32_e32 v56, v56, v150                               // 0000000046AC: 0A712D38
	v_mul_f32_e32 v57, v57, v151                               // 0000000046B0: 0A732F39
	v_mul_f32_e64 v54, v54, s6                                 // 0000000046B4: D1050036 00000D36
	v_mul_f32_e64 v55, v55, s6                                 // 0000000046BC: D1050037 00000D37
	v_mul_f32_e64 v56, v56, s6                                 // 0000000046C4: D1050038 00000D38
	v_mul_f32_e64 v57, v57, s6                                 // 0000000046CC: D1050039 00000D39
	v_exp_f32_e32 v54, v54                                     // 0000000046D4: 7E6C4136
	v_exp_f32_e32 v55, v55                                     // 0000000046D8: 7E6E4137
	v_exp_f32_e32 v56, v56                                     // 0000000046DC: 7E704138
	v_exp_f32_e32 v57, v57                                     // 0000000046E0: 7E724139
	buffer_load_dwordx4 a[44:47], v20, s[12:15], 0 offen offset:3072// 0000000046E4: E05C1C00 80832C14
	v_add_f32_e64 v54, v54, 1.0                                // 0000000046EC: D1010036 0001E536
	v_add_f32_e64 v55, v55, 1.0                                // 0000000046F4: D1010037 0001E537
	v_add_f32_e64 v56, v56, 1.0                                // 0000000046FC: D1010038 0001E538
	v_add_f32_e64 v57, v57, 1.0                                // 000000004704: D1010039 0001E539
	v_rcp_f32_e32 v54, v54                                     // 00000000470C: 7E6C4536
	v_rcp_f32_e32 v55, v55                                     // 000000004710: 7E6E4537
	v_rcp_f32_e32 v56, v56                                     // 000000004714: 7E704538
	v_rcp_f32_e32 v57, v57                                     // 000000004718: 7E724539
	v_mul_f32_e32 v148, v148, v54                              // 00000000471C: 0B286D94
	v_mul_f32_e32 v149, v149, v55                              // 000000004720: 0B2A6F95
	v_mul_f32_e32 v150, v150, v56                              // 000000004724: 0B2C7196
	v_mul_f32_e32 v151, v151, v57                              // 000000004728: 0B2E7397
	buffer_load_dwordx4 a[48:51], v21, s[12:15], 0 offen       // 00000000472C: E05C1000 80833015
	v_mul_f32_e32 v54, v152, v152                              // 000000004734: 0A6D3198
	v_mul_f32_e32 v55, v153, v153                              // 000000004738: 0A6F3399
	v_mul_f32_e32 v56, v154, v154                              // 00000000473C: 0A71359A
	v_mul_f32_e32 v57, v155, v155                              // 000000004740: 0A73379B
	v_fma_f32 v54, v54, s77, v5                                // 000000004744: D1CB0036 04149B36
	v_fma_f32 v55, v55, s77, v5                                // 00000000474C: D1CB0037 04149B37
	v_fma_f32 v56, v56, s77, v5                                // 000000004754: D1CB0038 04149B38
	v_fma_f32 v57, v57, s77, v5                                // 00000000475C: D1CB0039 04149B39
	v_mul_f32_e32 v54, v54, v152                               // 000000004764: 0A6D3136
	v_mul_f32_e32 v55, v55, v153                               // 000000004768: 0A6F3337
	v_mul_f32_e32 v56, v56, v154                               // 00000000476C: 0A713538
	v_mul_f32_e32 v57, v57, v155                               // 000000004770: 0A733739
	v_mul_f32_e64 v54, v54, s6                                 // 000000004774: D1050036 00000D36
	v_mul_f32_e64 v55, v55, s6                                 // 00000000477C: D1050037 00000D37
	v_mul_f32_e64 v56, v56, s6                                 // 000000004784: D1050038 00000D38
	v_mul_f32_e64 v57, v57, s6                                 // 00000000478C: D1050039 00000D39
	v_exp_f32_e32 v54, v54                                     // 000000004794: 7E6C4136
	v_exp_f32_e32 v55, v55                                     // 000000004798: 7E6E4137
	v_exp_f32_e32 v56, v56                                     // 00000000479C: 7E704138
	v_exp_f32_e32 v57, v57                                     // 0000000047A0: 7E724139
	buffer_load_dwordx4 a[52:55], v21, s[12:15], 0 offen offset:1024// 0000000047A4: E05C1400 80833415
	v_add_f32_e64 v54, v54, 1.0                                // 0000000047AC: D1010036 0001E536
	v_add_f32_e64 v55, v55, 1.0                                // 0000000047B4: D1010037 0001E537
	v_add_f32_e64 v56, v56, 1.0                                // 0000000047BC: D1010038 0001E538
	v_add_f32_e64 v57, v57, 1.0                                // 0000000047C4: D1010039 0001E539
	v_rcp_f32_e32 v54, v54                                     // 0000000047CC: 7E6C4536
	v_rcp_f32_e32 v55, v55                                     // 0000000047D0: 7E6E4537
	v_rcp_f32_e32 v56, v56                                     // 0000000047D4: 7E704538
	v_rcp_f32_e32 v57, v57                                     // 0000000047D8: 7E724539
	v_mul_f32_e32 v152, v152, v54                              // 0000000047DC: 0B306D98
	v_mul_f32_e32 v153, v153, v55                              // 0000000047E0: 0B326F99
	v_mul_f32_e32 v154, v154, v56                              // 0000000047E4: 0B34719A
	v_mul_f32_e32 v155, v155, v57                              // 0000000047E8: 0B36739B
	buffer_load_dwordx4 a[56:59], v21, s[12:15], 0 offen offset:2048// 0000000047EC: E05C1800 80833815
	v_mul_f32_e32 v54, v156, v156                              // 0000000047F4: 0A6D399C
	v_mul_f32_e32 v55, v157, v157                              // 0000000047F8: 0A6F3B9D
	v_mul_f32_e32 v56, v158, v158                              // 0000000047FC: 0A713D9E
	v_mul_f32_e32 v57, v159, v159                              // 000000004800: 0A733F9F
	v_fma_f32 v54, v54, s77, v5                                // 000000004804: D1CB0036 04149B36
	v_fma_f32 v55, v55, s77, v5                                // 00000000480C: D1CB0037 04149B37
	v_fma_f32 v56, v56, s77, v5                                // 000000004814: D1CB0038 04149B38
	v_fma_f32 v57, v57, s77, v5                                // 00000000481C: D1CB0039 04149B39
	v_mul_f32_e32 v54, v54, v156                               // 000000004824: 0A6D3936
	v_mul_f32_e32 v55, v55, v157                               // 000000004828: 0A6F3B37
	v_mul_f32_e32 v56, v56, v158                               // 00000000482C: 0A713D38
	v_mul_f32_e32 v57, v57, v159                               // 000000004830: 0A733F39
	v_mul_f32_e64 v54, v54, s6                                 // 000000004834: D1050036 00000D36
	v_mul_f32_e64 v55, v55, s6                                 // 00000000483C: D1050037 00000D37
	v_mul_f32_e64 v56, v56, s6                                 // 000000004844: D1050038 00000D38
	v_mul_f32_e64 v57, v57, s6                                 // 00000000484C: D1050039 00000D39
	v_exp_f32_e32 v54, v54                                     // 000000004854: 7E6C4136
	v_exp_f32_e32 v55, v55                                     // 000000004858: 7E6E4137
	v_exp_f32_e32 v56, v56                                     // 00000000485C: 7E704138
	v_exp_f32_e32 v57, v57                                     // 000000004860: 7E724139
	buffer_load_dwordx4 a[60:63], v21, s[12:15], 0 offen offset:3072// 000000004864: E05C1C00 80833C15
	v_add_f32_e64 v54, v54, 1.0                                // 00000000486C: D1010036 0001E536
	v_add_f32_e64 v55, v55, 1.0                                // 000000004874: D1010037 0001E537
	v_add_f32_e64 v56, v56, 1.0                                // 00000000487C: D1010038 0001E538
	v_add_f32_e64 v57, v57, 1.0                                // 000000004884: D1010039 0001E539
	v_rcp_f32_e32 v54, v54                                     // 00000000488C: 7E6C4536
	v_rcp_f32_e32 v55, v55                                     // 000000004890: 7E6E4537
	v_rcp_f32_e32 v56, v56                                     // 000000004894: 7E704538
	v_rcp_f32_e32 v57, v57                                     // 000000004898: 7E724539
	v_mul_f32_e32 v156, v156, v54                              // 00000000489C: 0B386D9C
	v_mul_f32_e32 v157, v157, v55                              // 0000000048A0: 0B3A6F9D
	v_mul_f32_e32 v158, v158, v56                              // 0000000048A4: 0B3C719E
	v_mul_f32_e32 v159, v159, v57                              // 0000000048A8: 0B3E739F
	s_waitcnt vmcnt(24)                                        // 0000000048AC: BF8C4F78
	buffer_load_dwordx4 a[64:67], v22, s[12:15], 0 offen       // 0000000048B0: E05C1000 80834016
	v_mul_f32_e32 v54, v160, v160                              // 0000000048B8: 0A6D41A0
	v_mul_f32_e32 v55, v161, v161                              // 0000000048BC: 0A6F43A1
	v_mul_f32_e32 v56, v162, v162                              // 0000000048C0: 0A7145A2
	v_mul_f32_e32 v57, v163, v163                              // 0000000048C4: 0A7347A3
	v_fma_f32 v54, v54, s77, v5                                // 0000000048C8: D1CB0036 04149B36
	v_fma_f32 v55, v55, s77, v5                                // 0000000048D0: D1CB0037 04149B37
	v_fma_f32 v56, v56, s77, v5                                // 0000000048D8: D1CB0038 04149B38
	v_fma_f32 v57, v57, s77, v5                                // 0000000048E0: D1CB0039 04149B39
	v_mul_f32_e32 v54, v54, v160                               // 0000000048E8: 0A6D4136
	v_mul_f32_e32 v55, v55, v161                               // 0000000048EC: 0A6F4337
	v_mul_f32_e32 v56, v56, v162                               // 0000000048F0: 0A714538
	v_mul_f32_e32 v57, v57, v163                               // 0000000048F4: 0A734739
	v_mul_f32_e64 v54, v54, s6                                 // 0000000048F8: D1050036 00000D36
	v_mul_f32_e64 v55, v55, s6                                 // 000000004900: D1050037 00000D37
	v_mul_f32_e64 v56, v56, s6                                 // 000000004908: D1050038 00000D38
	v_mul_f32_e64 v57, v57, s6                                 // 000000004910: D1050039 00000D39
	v_exp_f32_e32 v54, v54                                     // 000000004918: 7E6C4136
	v_exp_f32_e32 v55, v55                                     // 00000000491C: 7E6E4137
	v_exp_f32_e32 v56, v56                                     // 000000004920: 7E704138
	v_exp_f32_e32 v57, v57                                     // 000000004924: 7E724139
	buffer_load_dwordx4 a[68:71], v22, s[12:15], 0 offen offset:1024// 000000004928: E05C1400 80834416
	v_add_f32_e64 v54, v54, 1.0                                // 000000004930: D1010036 0001E536
	v_add_f32_e64 v55, v55, 1.0                                // 000000004938: D1010037 0001E537
	v_add_f32_e64 v56, v56, 1.0                                // 000000004940: D1010038 0001E538
	v_add_f32_e64 v57, v57, 1.0                                // 000000004948: D1010039 0001E539
	v_rcp_f32_e32 v54, v54                                     // 000000004950: 7E6C4536
	v_rcp_f32_e32 v55, v55                                     // 000000004954: 7E6E4537
	v_rcp_f32_e32 v56, v56                                     // 000000004958: 7E704538
	v_rcp_f32_e32 v57, v57                                     // 00000000495C: 7E724539
	v_mul_f32_e32 v160, v160, v54                              // 000000004960: 0B406DA0
	v_mul_f32_e32 v161, v161, v55                              // 000000004964: 0B426FA1
	v_mul_f32_e32 v162, v162, v56                              // 000000004968: 0B4471A2
	v_mul_f32_e32 v163, v163, v57                              // 00000000496C: 0B4673A3
	buffer_load_dwordx4 a[72:75], v22, s[12:15], 0 offen offset:2048// 000000004970: E05C1800 80834816
	v_mul_f32_e32 v54, v164, v164                              // 000000004978: 0A6D49A4
	v_mul_f32_e32 v55, v165, v165                              // 00000000497C: 0A6F4BA5
	v_mul_f32_e32 v56, v166, v166                              // 000000004980: 0A714DA6
	v_mul_f32_e32 v57, v167, v167                              // 000000004984: 0A734FA7
	v_fma_f32 v54, v54, s77, v5                                // 000000004988: D1CB0036 04149B36
	v_fma_f32 v55, v55, s77, v5                                // 000000004990: D1CB0037 04149B37
	v_fma_f32 v56, v56, s77, v5                                // 000000004998: D1CB0038 04149B38
	v_fma_f32 v57, v57, s77, v5                                // 0000000049A0: D1CB0039 04149B39
	v_mul_f32_e32 v54, v54, v164                               // 0000000049A8: 0A6D4936
	v_mul_f32_e32 v55, v55, v165                               // 0000000049AC: 0A6F4B37
	v_mul_f32_e32 v56, v56, v166                               // 0000000049B0: 0A714D38
	v_mul_f32_e32 v57, v57, v167                               // 0000000049B4: 0A734F39
	v_mul_f32_e64 v54, v54, s6                                 // 0000000049B8: D1050036 00000D36
	v_mul_f32_e64 v55, v55, s6                                 // 0000000049C0: D1050037 00000D37
	v_mul_f32_e64 v56, v56, s6                                 // 0000000049C8: D1050038 00000D38
	v_mul_f32_e64 v57, v57, s6                                 // 0000000049D0: D1050039 00000D39
	v_exp_f32_e32 v54, v54                                     // 0000000049D8: 7E6C4136
	v_exp_f32_e32 v55, v55                                     // 0000000049DC: 7E6E4137
	v_exp_f32_e32 v56, v56                                     // 0000000049E0: 7E704138
	v_exp_f32_e32 v57, v57                                     // 0000000049E4: 7E724139
	buffer_load_dwordx4 a[76:79], v22, s[12:15], 0 offen offset:3072// 0000000049E8: E05C1C00 80834C16
	v_add_f32_e64 v54, v54, 1.0                                // 0000000049F0: D1010036 0001E536
	v_add_f32_e64 v55, v55, 1.0                                // 0000000049F8: D1010037 0001E537
	v_add_f32_e64 v56, v56, 1.0                                // 000000004A00: D1010038 0001E538
	v_add_f32_e64 v57, v57, 1.0                                // 000000004A08: D1010039 0001E539
	v_rcp_f32_e32 v54, v54                                     // 000000004A10: 7E6C4536
	v_rcp_f32_e32 v55, v55                                     // 000000004A14: 7E6E4537
	v_rcp_f32_e32 v56, v56                                     // 000000004A18: 7E704538
	v_rcp_f32_e32 v57, v57                                     // 000000004A1C: 7E724539
	v_mul_f32_e32 v164, v164, v54                              // 000000004A20: 0B486DA4
	v_mul_f32_e32 v165, v165, v55                              // 000000004A24: 0B4A6FA5
	v_mul_f32_e32 v166, v166, v56                              // 000000004A28: 0B4C71A6
	v_mul_f32_e32 v167, v167, v57                              // 000000004A2C: 0B4E73A7
	buffer_load_dwordx4 a[80:83], v23, s[12:15], 0 offen       // 000000004A30: E05C1000 80835017
	v_mul_f32_e32 v54, v168, v168                              // 000000004A38: 0A6D51A8
	v_mul_f32_e32 v55, v169, v169                              // 000000004A3C: 0A6F53A9
	v_mul_f32_e32 v56, v170, v170                              // 000000004A40: 0A7155AA
	v_mul_f32_e32 v57, v171, v171                              // 000000004A44: 0A7357AB
	v_fma_f32 v54, v54, s77, v5                                // 000000004A48: D1CB0036 04149B36
	v_fma_f32 v55, v55, s77, v5                                // 000000004A50: D1CB0037 04149B37
	v_fma_f32 v56, v56, s77, v5                                // 000000004A58: D1CB0038 04149B38
	v_fma_f32 v57, v57, s77, v5                                // 000000004A60: D1CB0039 04149B39
	v_mul_f32_e32 v54, v54, v168                               // 000000004A68: 0A6D5136
	v_mul_f32_e32 v55, v55, v169                               // 000000004A6C: 0A6F5337
	v_mul_f32_e32 v56, v56, v170                               // 000000004A70: 0A715538
	v_mul_f32_e32 v57, v57, v171                               // 000000004A74: 0A735739
	v_mul_f32_e64 v54, v54, s6                                 // 000000004A78: D1050036 00000D36
	v_mul_f32_e64 v55, v55, s6                                 // 000000004A80: D1050037 00000D37
	v_mul_f32_e64 v56, v56, s6                                 // 000000004A88: D1050038 00000D38
	v_mul_f32_e64 v57, v57, s6                                 // 000000004A90: D1050039 00000D39
	v_exp_f32_e32 v54, v54                                     // 000000004A98: 7E6C4136
	v_exp_f32_e32 v55, v55                                     // 000000004A9C: 7E6E4137
	v_exp_f32_e32 v56, v56                                     // 000000004AA0: 7E704138
	v_exp_f32_e32 v57, v57                                     // 000000004AA4: 7E724139
	buffer_load_dwordx4 a[84:87], v23, s[12:15], 0 offen offset:1024// 000000004AA8: E05C1400 80835417
	v_add_f32_e64 v54, v54, 1.0                                // 000000004AB0: D1010036 0001E536
	v_add_f32_e64 v55, v55, 1.0                                // 000000004AB8: D1010037 0001E537
	v_add_f32_e64 v56, v56, 1.0                                // 000000004AC0: D1010038 0001E538
	v_add_f32_e64 v57, v57, 1.0                                // 000000004AC8: D1010039 0001E539
	v_rcp_f32_e32 v54, v54                                     // 000000004AD0: 7E6C4536
	v_rcp_f32_e32 v55, v55                                     // 000000004AD4: 7E6E4537
	v_rcp_f32_e32 v56, v56                                     // 000000004AD8: 7E704538
	v_rcp_f32_e32 v57, v57                                     // 000000004ADC: 7E724539
	v_mul_f32_e32 v168, v168, v54                              // 000000004AE0: 0B506DA8
	v_mul_f32_e32 v169, v169, v55                              // 000000004AE4: 0B526FA9
	v_mul_f32_e32 v170, v170, v56                              // 000000004AE8: 0B5471AA
	v_mul_f32_e32 v171, v171, v57                              // 000000004AEC: 0B5673AB
	buffer_load_dwordx4 a[88:91], v23, s[12:15], 0 offen offset:2048// 000000004AF0: E05C1800 80835817
	v_mul_f32_e32 v54, v172, v172                              // 000000004AF8: 0A6D59AC
	v_mul_f32_e32 v55, v173, v173                              // 000000004AFC: 0A6F5BAD
	v_mul_f32_e32 v56, v174, v174                              // 000000004B00: 0A715DAE
	v_mul_f32_e32 v57, v175, v175                              // 000000004B04: 0A735FAF
	v_fma_f32 v54, v54, s77, v5                                // 000000004B08: D1CB0036 04149B36
	v_fma_f32 v55, v55, s77, v5                                // 000000004B10: D1CB0037 04149B37
	v_fma_f32 v56, v56, s77, v5                                // 000000004B18: D1CB0038 04149B38
	v_fma_f32 v57, v57, s77, v5                                // 000000004B20: D1CB0039 04149B39
	v_mul_f32_e32 v54, v54, v172                               // 000000004B28: 0A6D5936
	v_mul_f32_e32 v55, v55, v173                               // 000000004B2C: 0A6F5B37
	v_mul_f32_e32 v56, v56, v174                               // 000000004B30: 0A715D38
	v_mul_f32_e32 v57, v57, v175                               // 000000004B34: 0A735F39
	v_mul_f32_e64 v54, v54, s6                                 // 000000004B38: D1050036 00000D36
	v_mul_f32_e64 v55, v55, s6                                 // 000000004B40: D1050037 00000D37
	v_mul_f32_e64 v56, v56, s6                                 // 000000004B48: D1050038 00000D38
	v_mul_f32_e64 v57, v57, s6                                 // 000000004B50: D1050039 00000D39
	v_exp_f32_e32 v54, v54                                     // 000000004B58: 7E6C4136
	v_exp_f32_e32 v55, v55                                     // 000000004B5C: 7E6E4137
	v_exp_f32_e32 v56, v56                                     // 000000004B60: 7E704138
	v_exp_f32_e32 v57, v57                                     // 000000004B64: 7E724139
	buffer_load_dwordx4 a[92:95], v23, s[12:15], 0 offen offset:3072// 000000004B68: E05C1C00 80835C17
	v_add_f32_e64 v54, v54, 1.0                                // 000000004B70: D1010036 0001E536
	v_add_f32_e64 v55, v55, 1.0                                // 000000004B78: D1010037 0001E537
	v_add_f32_e64 v56, v56, 1.0                                // 000000004B80: D1010038 0001E538
	v_add_f32_e64 v57, v57, 1.0                                // 000000004B88: D1010039 0001E539
	v_rcp_f32_e32 v54, v54                                     // 000000004B90: 7E6C4536
	v_rcp_f32_e32 v55, v55                                     // 000000004B94: 7E6E4537
	v_rcp_f32_e32 v56, v56                                     // 000000004B98: 7E704538
	v_rcp_f32_e32 v57, v57                                     // 000000004B9C: 7E724539
	v_mul_f32_e32 v172, v172, v54                              // 000000004BA0: 0B586DAC
	v_mul_f32_e32 v173, v173, v55                              // 000000004BA4: 0B5A6FAD
	v_mul_f32_e32 v174, v174, v56                              // 000000004BA8: 0B5C71AE
	v_mul_f32_e32 v175, v175, v57                              // 000000004BAC: 0B5E73AF
	s_waitcnt vmcnt(24)                                        // 000000004BB0: BF8C4F78
	buffer_load_dwordx4 a[96:99], v24, s[12:15], 0 offen       // 000000004BB4: E05C1000 80836018
	v_mul_f32_e32 v54, v176, v176                              // 000000004BBC: 0A6D61B0
	v_mul_f32_e32 v55, v177, v177                              // 000000004BC0: 0A6F63B1
	v_mul_f32_e32 v56, v178, v178                              // 000000004BC4: 0A7165B2
	v_mul_f32_e32 v57, v179, v179                              // 000000004BC8: 0A7367B3
	v_fma_f32 v54, v54, s77, v5                                // 000000004BCC: D1CB0036 04149B36
	v_fma_f32 v55, v55, s77, v5                                // 000000004BD4: D1CB0037 04149B37
	v_fma_f32 v56, v56, s77, v5                                // 000000004BDC: D1CB0038 04149B38
	v_fma_f32 v57, v57, s77, v5                                // 000000004BE4: D1CB0039 04149B39
	v_mul_f32_e32 v54, v54, v176                               // 000000004BEC: 0A6D6136
	v_mul_f32_e32 v55, v55, v177                               // 000000004BF0: 0A6F6337
	v_mul_f32_e32 v56, v56, v178                               // 000000004BF4: 0A716538
	v_mul_f32_e32 v57, v57, v179                               // 000000004BF8: 0A736739
	v_mul_f32_e64 v54, v54, s6                                 // 000000004BFC: D1050036 00000D36
	v_mul_f32_e64 v55, v55, s6                                 // 000000004C04: D1050037 00000D37
	v_mul_f32_e64 v56, v56, s6                                 // 000000004C0C: D1050038 00000D38
	v_mul_f32_e64 v57, v57, s6                                 // 000000004C14: D1050039 00000D39
	v_exp_f32_e32 v54, v54                                     // 000000004C1C: 7E6C4136
	v_exp_f32_e32 v55, v55                                     // 000000004C20: 7E6E4137
	v_exp_f32_e32 v56, v56                                     // 000000004C24: 7E704138
	v_exp_f32_e32 v57, v57                                     // 000000004C28: 7E724139
	buffer_load_dwordx4 a[100:103], v24, s[12:15], 0 offen offset:1024// 000000004C2C: E05C1400 80836418
	v_add_f32_e64 v54, v54, 1.0                                // 000000004C34: D1010036 0001E536
	v_add_f32_e64 v55, v55, 1.0                                // 000000004C3C: D1010037 0001E537
	v_add_f32_e64 v56, v56, 1.0                                // 000000004C44: D1010038 0001E538
	v_add_f32_e64 v57, v57, 1.0                                // 000000004C4C: D1010039 0001E539
	v_rcp_f32_e32 v54, v54                                     // 000000004C54: 7E6C4536
	v_rcp_f32_e32 v55, v55                                     // 000000004C58: 7E6E4537
	v_rcp_f32_e32 v56, v56                                     // 000000004C5C: 7E704538
	v_rcp_f32_e32 v57, v57                                     // 000000004C60: 7E724539
	v_mul_f32_e32 v176, v176, v54                              // 000000004C64: 0B606DB0
	v_mul_f32_e32 v177, v177, v55                              // 000000004C68: 0B626FB1
	v_mul_f32_e32 v178, v178, v56                              // 000000004C6C: 0B6471B2
	v_mul_f32_e32 v179, v179, v57                              // 000000004C70: 0B6673B3
	buffer_load_dwordx4 a[104:107], v24, s[12:15], 0 offen offset:2048// 000000004C74: E05C1800 80836818
	v_mul_f32_e32 v54, v180, v180                              // 000000004C7C: 0A6D69B4
	v_mul_f32_e32 v55, v181, v181                              // 000000004C80: 0A6F6BB5
	v_mul_f32_e32 v56, v182, v182                              // 000000004C84: 0A716DB6
	v_mul_f32_e32 v57, v183, v183                              // 000000004C88: 0A736FB7
	v_fma_f32 v54, v54, s77, v5                                // 000000004C8C: D1CB0036 04149B36
	v_fma_f32 v55, v55, s77, v5                                // 000000004C94: D1CB0037 04149B37
	v_fma_f32 v56, v56, s77, v5                                // 000000004C9C: D1CB0038 04149B38
	v_fma_f32 v57, v57, s77, v5                                // 000000004CA4: D1CB0039 04149B39
	v_mul_f32_e32 v54, v54, v180                               // 000000004CAC: 0A6D6936
	v_mul_f32_e32 v55, v55, v181                               // 000000004CB0: 0A6F6B37
	v_mul_f32_e32 v56, v56, v182                               // 000000004CB4: 0A716D38
	v_mul_f32_e32 v57, v57, v183                               // 000000004CB8: 0A736F39
	v_mul_f32_e64 v54, v54, s6                                 // 000000004CBC: D1050036 00000D36
	v_mul_f32_e64 v55, v55, s6                                 // 000000004CC4: D1050037 00000D37
	v_mul_f32_e64 v56, v56, s6                                 // 000000004CCC: D1050038 00000D38
	v_mul_f32_e64 v57, v57, s6                                 // 000000004CD4: D1050039 00000D39
	v_exp_f32_e32 v54, v54                                     // 000000004CDC: 7E6C4136
	v_exp_f32_e32 v55, v55                                     // 000000004CE0: 7E6E4137
	v_exp_f32_e32 v56, v56                                     // 000000004CE4: 7E704138
	v_exp_f32_e32 v57, v57                                     // 000000004CE8: 7E724139
	buffer_load_dwordx4 a[108:111], v24, s[12:15], 0 offen offset:3072// 000000004CEC: E05C1C00 80836C18
	v_add_f32_e64 v54, v54, 1.0                                // 000000004CF4: D1010036 0001E536
	v_add_f32_e64 v55, v55, 1.0                                // 000000004CFC: D1010037 0001E537
	v_add_f32_e64 v56, v56, 1.0                                // 000000004D04: D1010038 0001E538
	v_add_f32_e64 v57, v57, 1.0                                // 000000004D0C: D1010039 0001E539
	v_rcp_f32_e32 v54, v54                                     // 000000004D14: 7E6C4536
	v_rcp_f32_e32 v55, v55                                     // 000000004D18: 7E6E4537
	v_rcp_f32_e32 v56, v56                                     // 000000004D1C: 7E704538
	v_rcp_f32_e32 v57, v57                                     // 000000004D20: 7E724539
	v_mul_f32_e32 v180, v180, v54                              // 000000004D24: 0B686DB4
	v_mul_f32_e32 v181, v181, v55                              // 000000004D28: 0B6A6FB5
	v_mul_f32_e32 v182, v182, v56                              // 000000004D2C: 0B6C71B6
	v_mul_f32_e32 v183, v183, v57                              // 000000004D30: 0B6E73B7
	buffer_load_dwordx4 a[112:115], v25, s[12:15], 0 offen     // 000000004D34: E05C1000 80837019
	v_mul_f32_e32 v54, v184, v184                              // 000000004D3C: 0A6D71B8
	v_mul_f32_e32 v55, v185, v185                              // 000000004D40: 0A6F73B9
	v_mul_f32_e32 v56, v186, v186                              // 000000004D44: 0A7175BA
	v_mul_f32_e32 v57, v187, v187                              // 000000004D48: 0A7377BB
	v_fma_f32 v54, v54, s77, v5                                // 000000004D4C: D1CB0036 04149B36
	v_fma_f32 v55, v55, s77, v5                                // 000000004D54: D1CB0037 04149B37
	v_fma_f32 v56, v56, s77, v5                                // 000000004D5C: D1CB0038 04149B38
	v_fma_f32 v57, v57, s77, v5                                // 000000004D64: D1CB0039 04149B39
	v_mul_f32_e32 v54, v54, v184                               // 000000004D6C: 0A6D7136
	v_mul_f32_e32 v55, v55, v185                               // 000000004D70: 0A6F7337
	v_mul_f32_e32 v56, v56, v186                               // 000000004D74: 0A717538
	v_mul_f32_e32 v57, v57, v187                               // 000000004D78: 0A737739
	v_mul_f32_e64 v54, v54, s6                                 // 000000004D7C: D1050036 00000D36
	v_mul_f32_e64 v55, v55, s6                                 // 000000004D84: D1050037 00000D37
	v_mul_f32_e64 v56, v56, s6                                 // 000000004D8C: D1050038 00000D38
	v_mul_f32_e64 v57, v57, s6                                 // 000000004D94: D1050039 00000D39
	v_exp_f32_e32 v54, v54                                     // 000000004D9C: 7E6C4136
	v_exp_f32_e32 v55, v55                                     // 000000004DA0: 7E6E4137
	v_exp_f32_e32 v56, v56                                     // 000000004DA4: 7E704138
	v_exp_f32_e32 v57, v57                                     // 000000004DA8: 7E724139
	buffer_load_dwordx4 a[116:119], v25, s[12:15], 0 offen offset:1024// 000000004DAC: E05C1400 80837419
	v_add_f32_e64 v54, v54, 1.0                                // 000000004DB4: D1010036 0001E536
	v_add_f32_e64 v55, v55, 1.0                                // 000000004DBC: D1010037 0001E537
	v_add_f32_e64 v56, v56, 1.0                                // 000000004DC4: D1010038 0001E538
	v_add_f32_e64 v57, v57, 1.0                                // 000000004DCC: D1010039 0001E539
	v_rcp_f32_e32 v54, v54                                     // 000000004DD4: 7E6C4536
	v_rcp_f32_e32 v55, v55                                     // 000000004DD8: 7E6E4537
	v_rcp_f32_e32 v56, v56                                     // 000000004DDC: 7E704538
	v_rcp_f32_e32 v57, v57                                     // 000000004DE0: 7E724539
	v_mul_f32_e32 v184, v184, v54                              // 000000004DE4: 0B706DB8
	v_mul_f32_e32 v185, v185, v55                              // 000000004DE8: 0B726FB9
	v_mul_f32_e32 v186, v186, v56                              // 000000004DEC: 0B7471BA
	v_mul_f32_e32 v187, v187, v57                              // 000000004DF0: 0B7673BB
	buffer_load_dwordx4 a[120:123], v25, s[12:15], 0 offen offset:2048// 000000004DF4: E05C1800 80837819
	v_mul_f32_e32 v54, v188, v188                              // 000000004DFC: 0A6D79BC
	v_mul_f32_e32 v55, v189, v189                              // 000000004E00: 0A6F7BBD
	v_mul_f32_e32 v56, v190, v190                              // 000000004E04: 0A717DBE
	v_mul_f32_e32 v57, v191, v191                              // 000000004E08: 0A737FBF
	v_fma_f32 v54, v54, s77, v5                                // 000000004E0C: D1CB0036 04149B36
	v_fma_f32 v55, v55, s77, v5                                // 000000004E14: D1CB0037 04149B37
	v_fma_f32 v56, v56, s77, v5                                // 000000004E1C: D1CB0038 04149B38
	v_fma_f32 v57, v57, s77, v5                                // 000000004E24: D1CB0039 04149B39
	v_mul_f32_e32 v54, v54, v188                               // 000000004E2C: 0A6D7936
	v_mul_f32_e32 v55, v55, v189                               // 000000004E30: 0A6F7B37
	v_mul_f32_e32 v56, v56, v190                               // 000000004E34: 0A717D38
	v_mul_f32_e32 v57, v57, v191                               // 000000004E38: 0A737F39
	v_mul_f32_e64 v54, v54, s6                                 // 000000004E3C: D1050036 00000D36
	v_mul_f32_e64 v55, v55, s6                                 // 000000004E44: D1050037 00000D37
	v_mul_f32_e64 v56, v56, s6                                 // 000000004E4C: D1050038 00000D38
	v_mul_f32_e64 v57, v57, s6                                 // 000000004E54: D1050039 00000D39
	v_exp_f32_e32 v54, v54                                     // 000000004E5C: 7E6C4136
	v_exp_f32_e32 v55, v55                                     // 000000004E60: 7E6E4137
	v_exp_f32_e32 v56, v56                                     // 000000004E64: 7E704138
	v_exp_f32_e32 v57, v57                                     // 000000004E68: 7E724139
	buffer_load_dwordx4 a[124:127], v25, s[12:15], 0 offen offset:3072// 000000004E6C: E05C1C00 80837C19
	v_add_f32_e64 v54, v54, 1.0                                // 000000004E74: D1010036 0001E536
	v_add_f32_e64 v55, v55, 1.0                                // 000000004E7C: D1010037 0001E537
	v_add_f32_e64 v56, v56, 1.0                                // 000000004E84: D1010038 0001E538
	v_add_f32_e64 v57, v57, 1.0                                // 000000004E8C: D1010039 0001E539
	v_rcp_f32_e32 v54, v54                                     // 000000004E94: 7E6C4536
	v_rcp_f32_e32 v55, v55                                     // 000000004E98: 7E6E4537
	v_rcp_f32_e32 v56, v56                                     // 000000004E9C: 7E704538
	v_rcp_f32_e32 v57, v57                                     // 000000004EA0: 7E724539
	v_mul_f32_e32 v188, v188, v54                              // 000000004EA4: 0B786DBC
	v_mul_f32_e32 v189, v189, v55                              // 000000004EA8: 0B7A6FBD
	v_mul_f32_e32 v190, v190, v56                              // 000000004EAC: 0B7C71BE
	v_mul_f32_e32 v191, v191, v57                              // 000000004EB0: 0B7E73BF
	v_cmp_u_f32_e64 s[34:35], v128, v128                       // 000000004EB4: D0480022 00030180
	v_add3_u32 v50, v128, v53, 1                               // 000000004EBC: D1FF0032 02066B80
	v_cndmask_b32_e64 v54, v50, v52, s[34:35]                  // 000000004EC4: D1000036 008A6932
	v_cmp_u_f32_e64 s[34:35], v129, v129                       // 000000004ECC: D0480022 00030381
	v_add3_u32 v50, v129, v53, 1                               // 000000004ED4: D1FF0032 02066B81
	v_cndmask_b32_e64 v55, v50, v52, s[34:35]                  // 000000004EDC: D1000037 008A6932
	v_perm_b32 v128, v55, v54, s52                             // 000000004EE4: D1ED0080 00D26D37
	v_cmp_u_f32_e64 s[34:35], v130, v130                       // 000000004EEC: D0480022 00030582
	v_add3_u32 v50, v130, v53, 1                               // 000000004EF4: D1FF0032 02066B82
	v_cndmask_b32_e64 v54, v50, v52, s[34:35]                  // 000000004EFC: D1000036 008A6932
	v_cmp_u_f32_e64 s[34:35], v131, v131                       // 000000004F04: D0480022 00030783
	v_add3_u32 v50, v131, v53, 1                               // 000000004F0C: D1FF0032 02066B83
	v_cndmask_b32_e64 v55, v50, v52, s[34:35]                  // 000000004F14: D1000037 008A6932
	v_perm_b32 v129, v55, v54, s52                             // 000000004F1C: D1ED0081 00D26D37
	v_cmp_u_f32_e64 s[34:35], v132, v132                       // 000000004F24: D0480022 00030984
	v_add3_u32 v50, v132, v53, 1                               // 000000004F2C: D1FF0032 02066B84
	v_cndmask_b32_e64 v54, v50, v52, s[34:35]                  // 000000004F34: D1000036 008A6932
	v_cmp_u_f32_e64 s[34:35], v133, v133                       // 000000004F3C: D0480022 00030B85
	v_add3_u32 v50, v133, v53, 1                               // 000000004F44: D1FF0032 02066B85
	v_cndmask_b32_e64 v55, v50, v52, s[34:35]                  // 000000004F4C: D1000037 008A6932
	v_perm_b32 v130, v55, v54, s52                             // 000000004F54: D1ED0082 00D26D37
	v_cmp_u_f32_e64 s[34:35], v134, v134                       // 000000004F5C: D0480022 00030D86
	v_add3_u32 v50, v134, v53, 1                               // 000000004F64: D1FF0032 02066B86
	v_cndmask_b32_e64 v54, v50, v52, s[34:35]                  // 000000004F6C: D1000036 008A6932
	v_cmp_u_f32_e64 s[34:35], v135, v135                       // 000000004F74: D0480022 00030F87
	v_add3_u32 v50, v135, v53, 1                               // 000000004F7C: D1FF0032 02066B87
	v_cndmask_b32_e64 v55, v50, v52, s[34:35]                  // 000000004F84: D1000037 008A6932
	v_perm_b32 v131, v55, v54, s52                             // 000000004F8C: D1ED0083 00D26D37
	v_cmp_u_f32_e64 s[34:35], v136, v136                       // 000000004F94: D0480022 00031188
	v_add3_u32 v50, v136, v53, 1                               // 000000004F9C: D1FF0032 02066B88
	v_cndmask_b32_e64 v54, v50, v52, s[34:35]                  // 000000004FA4: D1000036 008A6932
	v_cmp_u_f32_e64 s[34:35], v137, v137                       // 000000004FAC: D0480022 00031389
	v_add3_u32 v50, v137, v53, 1                               // 000000004FB4: D1FF0032 02066B89
	v_cndmask_b32_e64 v55, v50, v52, s[34:35]                  // 000000004FBC: D1000037 008A6932
	v_perm_b32 v132, v55, v54, s52                             // 000000004FC4: D1ED0084 00D26D37
	v_cmp_u_f32_e64 s[34:35], v138, v138                       // 000000004FCC: D0480022 0003158A
	v_add3_u32 v50, v138, v53, 1                               // 000000004FD4: D1FF0032 02066B8A
	v_cndmask_b32_e64 v54, v50, v52, s[34:35]                  // 000000004FDC: D1000036 008A6932
	v_cmp_u_f32_e64 s[34:35], v139, v139                       // 000000004FE4: D0480022 0003178B
	v_add3_u32 v50, v139, v53, 1                               // 000000004FEC: D1FF0032 02066B8B
	v_cndmask_b32_e64 v55, v50, v52, s[34:35]                  // 000000004FF4: D1000037 008A6932
	v_perm_b32 v133, v55, v54, s52                             // 000000004FFC: D1ED0085 00D26D37
	v_cmp_u_f32_e64 s[34:35], v140, v140                       // 000000005004: D0480022 0003198C
	v_add3_u32 v50, v140, v53, 1                               // 00000000500C: D1FF0032 02066B8C
	v_cndmask_b32_e64 v54, v50, v52, s[34:35]                  // 000000005014: D1000036 008A6932
	v_cmp_u_f32_e64 s[34:35], v141, v141                       // 00000000501C: D0480022 00031B8D
	v_add3_u32 v50, v141, v53, 1                               // 000000005024: D1FF0032 02066B8D
	v_cndmask_b32_e64 v55, v50, v52, s[34:35]                  // 00000000502C: D1000037 008A6932
	v_perm_b32 v134, v55, v54, s52                             // 000000005034: D1ED0086 00D26D37
	v_cmp_u_f32_e64 s[34:35], v142, v142                       // 00000000503C: D0480022 00031D8E
	v_add3_u32 v50, v142, v53, 1                               // 000000005044: D1FF0032 02066B8E
	v_cndmask_b32_e64 v54, v50, v52, s[34:35]                  // 00000000504C: D1000036 008A6932
	v_cmp_u_f32_e64 s[34:35], v143, v143                       // 000000005054: D0480022 00031F8F
	v_add3_u32 v50, v143, v53, 1                               // 00000000505C: D1FF0032 02066B8F
	v_cndmask_b32_e64 v55, v50, v52, s[34:35]                  // 000000005064: D1000037 008A6932
	v_perm_b32 v135, v55, v54, s52                             // 00000000506C: D1ED0087 00D26D37
	v_cmp_u_f32_e64 s[34:35], v144, v144                       // 000000005074: D0480022 00032190
	v_add3_u32 v50, v144, v53, 1                               // 00000000507C: D1FF0032 02066B90
	v_cndmask_b32_e64 v54, v50, v52, s[34:35]                  // 000000005084: D1000036 008A6932
	v_cmp_u_f32_e64 s[34:35], v145, v145                       // 00000000508C: D0480022 00032391
	v_add3_u32 v50, v145, v53, 1                               // 000000005094: D1FF0032 02066B91
	v_cndmask_b32_e64 v55, v50, v52, s[34:35]                  // 00000000509C: D1000037 008A6932
	v_perm_b32 v136, v55, v54, s52                             // 0000000050A4: D1ED0088 00D26D37
	v_cmp_u_f32_e64 s[34:35], v146, v146                       // 0000000050AC: D0480022 00032592
	v_add3_u32 v50, v146, v53, 1                               // 0000000050B4: D1FF0032 02066B92
	v_cndmask_b32_e64 v54, v50, v52, s[34:35]                  // 0000000050BC: D1000036 008A6932
	v_cmp_u_f32_e64 s[34:35], v147, v147                       // 0000000050C4: D0480022 00032793
	v_add3_u32 v50, v147, v53, 1                               // 0000000050CC: D1FF0032 02066B93
	v_cndmask_b32_e64 v55, v50, v52, s[34:35]                  // 0000000050D4: D1000037 008A6932
	v_perm_b32 v137, v55, v54, s52                             // 0000000050DC: D1ED0089 00D26D37
	v_cmp_u_f32_e64 s[34:35], v148, v148                       // 0000000050E4: D0480022 00032994
	v_add3_u32 v50, v148, v53, 1                               // 0000000050EC: D1FF0032 02066B94
	v_cndmask_b32_e64 v54, v50, v52, s[34:35]                  // 0000000050F4: D1000036 008A6932
	v_cmp_u_f32_e64 s[34:35], v149, v149                       // 0000000050FC: D0480022 00032B95
	v_add3_u32 v50, v149, v53, 1                               // 000000005104: D1FF0032 02066B95
	v_cndmask_b32_e64 v55, v50, v52, s[34:35]                  // 00000000510C: D1000037 008A6932
	v_perm_b32 v138, v55, v54, s52                             // 000000005114: D1ED008A 00D26D37
	v_cmp_u_f32_e64 s[34:35], v150, v150                       // 00000000511C: D0480022 00032D96
	v_add3_u32 v50, v150, v53, 1                               // 000000005124: D1FF0032 02066B96
	v_cndmask_b32_e64 v54, v50, v52, s[34:35]                  // 00000000512C: D1000036 008A6932
	v_cmp_u_f32_e64 s[34:35], v151, v151                       // 000000005134: D0480022 00032F97
	v_add3_u32 v50, v151, v53, 1                               // 00000000513C: D1FF0032 02066B97
	v_cndmask_b32_e64 v55, v50, v52, s[34:35]                  // 000000005144: D1000037 008A6932
	v_perm_b32 v139, v55, v54, s52                             // 00000000514C: D1ED008B 00D26D37
	v_cmp_u_f32_e64 s[34:35], v152, v152                       // 000000005154: D0480022 00033198
	v_add3_u32 v50, v152, v53, 1                               // 00000000515C: D1FF0032 02066B98
	v_cndmask_b32_e64 v54, v50, v52, s[34:35]                  // 000000005164: D1000036 008A6932
	v_cmp_u_f32_e64 s[34:35], v153, v153                       // 00000000516C: D0480022 00033399
	v_add3_u32 v50, v153, v53, 1                               // 000000005174: D1FF0032 02066B99
	v_cndmask_b32_e64 v55, v50, v52, s[34:35]                  // 00000000517C: D1000037 008A6932
	v_perm_b32 v140, v55, v54, s52                             // 000000005184: D1ED008C 00D26D37
	v_cmp_u_f32_e64 s[34:35], v154, v154                       // 00000000518C: D0480022 0003359A
	v_add3_u32 v50, v154, v53, 1                               // 000000005194: D1FF0032 02066B9A
	v_cndmask_b32_e64 v54, v50, v52, s[34:35]                  // 00000000519C: D1000036 008A6932
	v_cmp_u_f32_e64 s[34:35], v155, v155                       // 0000000051A4: D0480022 0003379B
	v_add3_u32 v50, v155, v53, 1                               // 0000000051AC: D1FF0032 02066B9B
	v_cndmask_b32_e64 v55, v50, v52, s[34:35]                  // 0000000051B4: D1000037 008A6932
	v_perm_b32 v141, v55, v54, s52                             // 0000000051BC: D1ED008D 00D26D37
	v_cmp_u_f32_e64 s[34:35], v156, v156                       // 0000000051C4: D0480022 0003399C
	v_add3_u32 v50, v156, v53, 1                               // 0000000051CC: D1FF0032 02066B9C
	v_cndmask_b32_e64 v54, v50, v52, s[34:35]                  // 0000000051D4: D1000036 008A6932
	v_cmp_u_f32_e64 s[34:35], v157, v157                       // 0000000051DC: D0480022 00033B9D
	v_add3_u32 v50, v157, v53, 1                               // 0000000051E4: D1FF0032 02066B9D
	v_cndmask_b32_e64 v55, v50, v52, s[34:35]                  // 0000000051EC: D1000037 008A6932
	v_perm_b32 v142, v55, v54, s52                             // 0000000051F4: D1ED008E 00D26D37
	v_cmp_u_f32_e64 s[34:35], v158, v158                       // 0000000051FC: D0480022 00033D9E
	v_add3_u32 v50, v158, v53, 1                               // 000000005204: D1FF0032 02066B9E
	v_cndmask_b32_e64 v54, v50, v52, s[34:35]                  // 00000000520C: D1000036 008A6932
	v_cmp_u_f32_e64 s[34:35], v159, v159                       // 000000005214: D0480022 00033F9F
	v_add3_u32 v50, v159, v53, 1                               // 00000000521C: D1FF0032 02066B9F
	v_cndmask_b32_e64 v55, v50, v52, s[34:35]                  // 000000005224: D1000037 008A6932
	v_perm_b32 v143, v55, v54, s52                             // 00000000522C: D1ED008F 00D26D37
	v_cmp_u_f32_e64 s[34:35], v160, v160                       // 000000005234: D0480022 000341A0
	v_add3_u32 v50, v160, v53, 1                               // 00000000523C: D1FF0032 02066BA0
	v_cndmask_b32_e64 v54, v50, v52, s[34:35]                  // 000000005244: D1000036 008A6932
	v_cmp_u_f32_e64 s[34:35], v161, v161                       // 00000000524C: D0480022 000343A1
	v_add3_u32 v50, v161, v53, 1                               // 000000005254: D1FF0032 02066BA1
	v_cndmask_b32_e64 v55, v50, v52, s[34:35]                  // 00000000525C: D1000037 008A6932
	v_perm_b32 v144, v55, v54, s52                             // 000000005264: D1ED0090 00D26D37
	v_cmp_u_f32_e64 s[34:35], v162, v162                       // 00000000526C: D0480022 000345A2
	v_add3_u32 v50, v162, v53, 1                               // 000000005274: D1FF0032 02066BA2
	v_cndmask_b32_e64 v54, v50, v52, s[34:35]                  // 00000000527C: D1000036 008A6932
	v_cmp_u_f32_e64 s[34:35], v163, v163                       // 000000005284: D0480022 000347A3
	v_add3_u32 v50, v163, v53, 1                               // 00000000528C: D1FF0032 02066BA3
	v_cndmask_b32_e64 v55, v50, v52, s[34:35]                  // 000000005294: D1000037 008A6932
	v_perm_b32 v145, v55, v54, s52                             // 00000000529C: D1ED0091 00D26D37
	v_cmp_u_f32_e64 s[34:35], v164, v164                       // 0000000052A4: D0480022 000349A4
	v_add3_u32 v50, v164, v53, 1                               // 0000000052AC: D1FF0032 02066BA4
	v_cndmask_b32_e64 v54, v50, v52, s[34:35]                  // 0000000052B4: D1000036 008A6932
	v_cmp_u_f32_e64 s[34:35], v165, v165                       // 0000000052BC: D0480022 00034BA5
	v_add3_u32 v50, v165, v53, 1                               // 0000000052C4: D1FF0032 02066BA5
	v_cndmask_b32_e64 v55, v50, v52, s[34:35]                  // 0000000052CC: D1000037 008A6932
	v_perm_b32 v146, v55, v54, s52                             // 0000000052D4: D1ED0092 00D26D37
	v_cmp_u_f32_e64 s[34:35], v166, v166                       // 0000000052DC: D0480022 00034DA6
	v_add3_u32 v50, v166, v53, 1                               // 0000000052E4: D1FF0032 02066BA6
	v_cndmask_b32_e64 v54, v50, v52, s[34:35]                  // 0000000052EC: D1000036 008A6932
	v_cmp_u_f32_e64 s[34:35], v167, v167                       // 0000000052F4: D0480022 00034FA7
	v_add3_u32 v50, v167, v53, 1                               // 0000000052FC: D1FF0032 02066BA7
	v_cndmask_b32_e64 v55, v50, v52, s[34:35]                  // 000000005304: D1000037 008A6932
	v_perm_b32 v147, v55, v54, s52                             // 00000000530C: D1ED0093 00D26D37
	v_cmp_u_f32_e64 s[34:35], v168, v168                       // 000000005314: D0480022 000351A8
	v_add3_u32 v50, v168, v53, 1                               // 00000000531C: D1FF0032 02066BA8
	v_cndmask_b32_e64 v54, v50, v52, s[34:35]                  // 000000005324: D1000036 008A6932
	v_cmp_u_f32_e64 s[34:35], v169, v169                       // 00000000532C: D0480022 000353A9
	v_add3_u32 v50, v169, v53, 1                               // 000000005334: D1FF0032 02066BA9
	v_cndmask_b32_e64 v55, v50, v52, s[34:35]                  // 00000000533C: D1000037 008A6932
	v_perm_b32 v148, v55, v54, s52                             // 000000005344: D1ED0094 00D26D37
	v_cmp_u_f32_e64 s[34:35], v170, v170                       // 00000000534C: D0480022 000355AA
	v_add3_u32 v50, v170, v53, 1                               // 000000005354: D1FF0032 02066BAA
	v_cndmask_b32_e64 v54, v50, v52, s[34:35]                  // 00000000535C: D1000036 008A6932
	v_cmp_u_f32_e64 s[34:35], v171, v171                       // 000000005364: D0480022 000357AB
	v_add3_u32 v50, v171, v53, 1                               // 00000000536C: D1FF0032 02066BAB
	v_cndmask_b32_e64 v55, v50, v52, s[34:35]                  // 000000005374: D1000037 008A6932
	v_perm_b32 v149, v55, v54, s52                             // 00000000537C: D1ED0095 00D26D37
	v_cmp_u_f32_e64 s[34:35], v172, v172                       // 000000005384: D0480022 000359AC
	v_add3_u32 v50, v172, v53, 1                               // 00000000538C: D1FF0032 02066BAC
	v_cndmask_b32_e64 v54, v50, v52, s[34:35]                  // 000000005394: D1000036 008A6932
	v_cmp_u_f32_e64 s[34:35], v173, v173                       // 00000000539C: D0480022 00035BAD
	v_add3_u32 v50, v173, v53, 1                               // 0000000053A4: D1FF0032 02066BAD
	v_cndmask_b32_e64 v55, v50, v52, s[34:35]                  // 0000000053AC: D1000037 008A6932
	v_perm_b32 v150, v55, v54, s52                             // 0000000053B4: D1ED0096 00D26D37
	v_cmp_u_f32_e64 s[34:35], v174, v174                       // 0000000053BC: D0480022 00035DAE
	v_add3_u32 v50, v174, v53, 1                               // 0000000053C4: D1FF0032 02066BAE
	v_cndmask_b32_e64 v54, v50, v52, s[34:35]                  // 0000000053CC: D1000036 008A6932
	v_cmp_u_f32_e64 s[34:35], v175, v175                       // 0000000053D4: D0480022 00035FAF
	v_add3_u32 v50, v175, v53, 1                               // 0000000053DC: D1FF0032 02066BAF
	v_cndmask_b32_e64 v55, v50, v52, s[34:35]                  // 0000000053E4: D1000037 008A6932
	v_perm_b32 v151, v55, v54, s52                             // 0000000053EC: D1ED0097 00D26D37
	v_cmp_u_f32_e64 s[34:35], v176, v176                       // 0000000053F4: D0480022 000361B0
	v_add3_u32 v50, v176, v53, 1                               // 0000000053FC: D1FF0032 02066BB0
	v_cndmask_b32_e64 v54, v50, v52, s[34:35]                  // 000000005404: D1000036 008A6932
	v_cmp_u_f32_e64 s[34:35], v177, v177                       // 00000000540C: D0480022 000363B1
	v_add3_u32 v50, v177, v53, 1                               // 000000005414: D1FF0032 02066BB1
	v_cndmask_b32_e64 v55, v50, v52, s[34:35]                  // 00000000541C: D1000037 008A6932
	v_perm_b32 v152, v55, v54, s52                             // 000000005424: D1ED0098 00D26D37
	v_cmp_u_f32_e64 s[34:35], v178, v178                       // 00000000542C: D0480022 000365B2
	v_add3_u32 v50, v178, v53, 1                               // 000000005434: D1FF0032 02066BB2
	v_cndmask_b32_e64 v54, v50, v52, s[34:35]                  // 00000000543C: D1000036 008A6932
	v_cmp_u_f32_e64 s[34:35], v179, v179                       // 000000005444: D0480022 000367B3
	v_add3_u32 v50, v179, v53, 1                               // 00000000544C: D1FF0032 02066BB3
	v_cndmask_b32_e64 v55, v50, v52, s[34:35]                  // 000000005454: D1000037 008A6932
	v_perm_b32 v153, v55, v54, s52                             // 00000000545C: D1ED0099 00D26D37
	v_cmp_u_f32_e64 s[34:35], v180, v180                       // 000000005464: D0480022 000369B4
	v_add3_u32 v50, v180, v53, 1                               // 00000000546C: D1FF0032 02066BB4
	v_cndmask_b32_e64 v54, v50, v52, s[34:35]                  // 000000005474: D1000036 008A6932
	v_cmp_u_f32_e64 s[34:35], v181, v181                       // 00000000547C: D0480022 00036BB5
	v_add3_u32 v50, v181, v53, 1                               // 000000005484: D1FF0032 02066BB5
	v_cndmask_b32_e64 v55, v50, v52, s[34:35]                  // 00000000548C: D1000037 008A6932
	v_perm_b32 v154, v55, v54, s52                             // 000000005494: D1ED009A 00D26D37
	v_cmp_u_f32_e64 s[34:35], v182, v182                       // 00000000549C: D0480022 00036DB6
	v_add3_u32 v50, v182, v53, 1                               // 0000000054A4: D1FF0032 02066BB6
	v_cndmask_b32_e64 v54, v50, v52, s[34:35]                  // 0000000054AC: D1000036 008A6932
	v_cmp_u_f32_e64 s[34:35], v183, v183                       // 0000000054B4: D0480022 00036FB7
	v_add3_u32 v50, v183, v53, 1                               // 0000000054BC: D1FF0032 02066BB7
	v_cndmask_b32_e64 v55, v50, v52, s[34:35]                  // 0000000054C4: D1000037 008A6932
	v_perm_b32 v155, v55, v54, s52                             // 0000000054CC: D1ED009B 00D26D37
	v_cmp_u_f32_e64 s[34:35], v184, v184                       // 0000000054D4: D0480022 000371B8
	v_add3_u32 v50, v184, v53, 1                               // 0000000054DC: D1FF0032 02066BB8
	v_cndmask_b32_e64 v54, v50, v52, s[34:35]                  // 0000000054E4: D1000036 008A6932
	v_cmp_u_f32_e64 s[34:35], v185, v185                       // 0000000054EC: D0480022 000373B9
	v_add3_u32 v50, v185, v53, 1                               // 0000000054F4: D1FF0032 02066BB9
	v_cndmask_b32_e64 v55, v50, v52, s[34:35]                  // 0000000054FC: D1000037 008A6932
	v_perm_b32 v156, v55, v54, s52                             // 000000005504: D1ED009C 00D26D37
	v_cmp_u_f32_e64 s[34:35], v186, v186                       // 00000000550C: D0480022 000375BA
	v_add3_u32 v50, v186, v53, 1                               // 000000005514: D1FF0032 02066BBA
	v_cndmask_b32_e64 v54, v50, v52, s[34:35]                  // 00000000551C: D1000036 008A6932
	v_cmp_u_f32_e64 s[34:35], v187, v187                       // 000000005524: D0480022 000377BB
	v_add3_u32 v50, v187, v53, 1                               // 00000000552C: D1FF0032 02066BBB
	v_cndmask_b32_e64 v55, v50, v52, s[34:35]                  // 000000005534: D1000037 008A6932
	v_perm_b32 v157, v55, v54, s52                             // 00000000553C: D1ED009D 00D26D37
	v_cmp_u_f32_e64 s[34:35], v188, v188                       // 000000005544: D0480022 000379BC
	v_add3_u32 v50, v188, v53, 1                               // 00000000554C: D1FF0032 02066BBC
	v_cndmask_b32_e64 v54, v50, v52, s[34:35]                  // 000000005554: D1000036 008A6932
	v_cmp_u_f32_e64 s[34:35], v189, v189                       // 00000000555C: D0480022 00037BBD
	v_add3_u32 v50, v189, v53, 1                               // 000000005564: D1FF0032 02066BBD
	v_cndmask_b32_e64 v55, v50, v52, s[34:35]                  // 00000000556C: D1000037 008A6932
	v_perm_b32 v158, v55, v54, s52                             // 000000005574: D1ED009E 00D26D37
	v_cmp_u_f32_e64 s[34:35], v190, v190                       // 00000000557C: D0480022 00037DBE
	v_add3_u32 v50, v190, v53, 1                               // 000000005584: D1FF0032 02066BBE
	v_cndmask_b32_e64 v54, v50, v52, s[34:35]                  // 00000000558C: D1000036 008A6932
	v_cmp_u_f32_e64 s[34:35], v191, v191                       // 000000005594: D0480022 00037FBF
	v_add3_u32 v50, v191, v53, 1                               // 00000000559C: D1FF0032 02066BBF
	v_cndmask_b32_e64 v55, v50, v52, s[34:35]                  // 0000000055A4: D1000037 008A6932
	v_perm_b32 v159, v55, v54, s52                             // 0000000055AC: D1ED009F 00D26D37
	v_lshlrev_b32_e32 v54, 3, v0                               // 0000000055B4: 246C0083
	s_mul_i32 s60, 0x200, s7                                   // 0000000055B8: 923C07FF 00000200
	v_add_u32_e64 v54, v54, s60                                // 0000000055C0: D1340036 00007936
	ds_write_b64 v54, v[128:129] offset:16640                  // 0000000055C8: D89A4100 00008036
	ds_write_b64 v54, v[130:131] offset:33024                  // 0000000055D0: D89A8100 00008236
	ds_write_b64 v54, v[132:133] offset:18688                  // 0000000055D8: D89A4900 00008436
	ds_write_b64 v54, v[134:135] offset:35072                  // 0000000055E0: D89A8900 00008636
	ds_write_b64 v54, v[136:137] offset:20736                  // 0000000055E8: D89A5100 00008836
	ds_write_b64 v54, v[138:139] offset:37120                  // 0000000055F0: D89A9100 00008A36
	ds_write_b64 v54, v[140:141] offset:22784                  // 0000000055F8: D89A5900 00008C36
	ds_write_b64 v54, v[142:143] offset:39168                  // 000000005600: D89A9900 00008E36
	ds_write_b64 v54, v[144:145] offset:24832                  // 000000005608: D89A6100 00009036
	ds_write_b64 v54, v[146:147] offset:41216                  // 000000005610: D89AA100 00009236
	ds_write_b64 v54, v[148:149] offset:26880                  // 000000005618: D89A6900 00009436
	ds_write_b64 v54, v[150:151] offset:43264                  // 000000005620: D89AA900 00009636
	ds_write_b64 v54, v[152:153] offset:28928                  // 000000005628: D89A7100 00009836
	ds_write_b64 v54, v[154:155] offset:45312                  // 000000005630: D89AB100 00009A36
	ds_write_b64 v54, v[156:157] offset:30976                  // 000000005638: D89A7900 00009C36
	ds_write_b64 v54, v[158:159] offset:47360                  // 000000005640: D89AB900 00009E36
	s_waitcnt lgkmcnt(0)                                       // 000000005648: BF8CC07F
	s_barrier                                                  // 00000000564C: BF8A0000
	v_lshrrev_b32_e32 v54, 4, v0                               // 000000005650: 206C0084
	v_lshlrev_b32_e32 v55, 6, v54                              // 000000005654: 246E6C86
	v_and_b32_e32 v54, 15, v0                                  // 000000005658: 266C008F
	v_lshlrev_b32_e32 v54, 1, v54                              // 00000000565C: 246C6C81
	v_add_u32_e32 v55, v54, v55                                // 000000005660: 686E6F36
	v_lshlrev_b32_e32 v54, 2, v55                              // 000000005664: 246C6E82
	ds_read_b64 v[128:129], v54 offset:16640                   // 000000005668: D8EC4100 80000036
	ds_read_b64 v[130:131], v54 offset:16768                   // 000000005670: D8EC4180 82000036
	ds_read_b64 v[132:133], v54 offset:17664                   // 000000005678: D8EC4500 84000036
	ds_read_b64 v[134:135], v54 offset:17792                   // 000000005680: D8EC4580 86000036
	ds_read_b64 v[136:137], v54 offset:18688                   // 000000005688: D8EC4900 88000036
	ds_read_b64 v[138:139], v54 offset:18816                   // 000000005690: D8EC4980 8A000036
	ds_read_b64 v[140:141], v54 offset:19712                   // 000000005698: D8EC4D00 8C000036
	ds_read_b64 v[142:143], v54 offset:19840                   // 0000000056A0: D8EC4D80 8E000036
	ds_read_b64 v[144:145], v54 offset:20736                   // 0000000056A8: D8EC5100 90000036
	ds_read_b64 v[146:147], v54 offset:20864                   // 0000000056B0: D8EC5180 92000036
	ds_read_b64 v[148:149], v54 offset:21760                   // 0000000056B8: D8EC5500 94000036
	ds_read_b64 v[150:151], v54 offset:21888                   // 0000000056C0: D8EC5580 96000036
	ds_read_b64 v[152:153], v54 offset:22784                   // 0000000056C8: D8EC5900 98000036
	ds_read_b64 v[154:155], v54 offset:22912                   // 0000000056D0: D8EC5980 9A000036
	ds_read_b64 v[156:157], v54 offset:23808                   // 0000000056D8: D8EC5D00 9C000036
	ds_read_b64 v[158:159], v54 offset:23936                   // 0000000056E0: D8EC5D80 9E000036
	ds_read_b64 v[160:161], v54 offset:24832                   // 0000000056E8: D8EC6100 A0000036
	ds_read_b64 v[162:163], v54 offset:24960                   // 0000000056F0: D8EC6180 A2000036
	ds_read_b64 v[164:165], v54 offset:25856                   // 0000000056F8: D8EC6500 A4000036
	ds_read_b64 v[166:167], v54 offset:25984                   // 000000005700: D8EC6580 A6000036
	ds_read_b64 v[168:169], v54 offset:26880                   // 000000005708: D8EC6900 A8000036
	ds_read_b64 v[170:171], v54 offset:27008                   // 000000005710: D8EC6980 AA000036
	ds_read_b64 v[172:173], v54 offset:27904                   // 000000005718: D8EC6D00 AC000036
	ds_read_b64 v[174:175], v54 offset:28032                   // 000000005720: D8EC6D80 AE000036
	ds_read_b64 v[176:177], v54 offset:28928                   // 000000005728: D8EC7100 B0000036
	ds_read_b64 v[178:179], v54 offset:29056                   // 000000005730: D8EC7180 B2000036
	ds_read_b64 v[180:181], v54 offset:29952                   // 000000005738: D8EC7500 B4000036
	ds_read_b64 v[182:183], v54 offset:30080                   // 000000005740: D8EC7580 B6000036
	ds_read_b64 v[184:185], v54 offset:30976                   // 000000005748: D8EC7900 B8000036
	ds_read_b64 v[186:187], v54 offset:31104                   // 000000005750: D8EC7980 BA000036
	ds_read_b64 v[188:189], v54 offset:32000                   // 000000005758: D8EC7D00 BC000036
	ds_read_b64 v[190:191], v54 offset:32128                   // 000000005760: D8EC7D80 BE000036
	ds_read_b64 v[192:193], v54 offset:33024                   // 000000005768: D8EC8100 C0000036
	ds_read_b64 v[194:195], v54 offset:33152                   // 000000005770: D8EC8180 C2000036
	ds_read_b64 v[196:197], v54 offset:34048                   // 000000005778: D8EC8500 C4000036
	ds_read_b64 v[198:199], v54 offset:34176                   // 000000005780: D8EC8580 C6000036
	ds_read_b64 v[200:201], v54 offset:35072                   // 000000005788: D8EC8900 C8000036
	ds_read_b64 v[202:203], v54 offset:35200                   // 000000005790: D8EC8980 CA000036
	ds_read_b64 v[204:205], v54 offset:36096                   // 000000005798: D8EC8D00 CC000036
	ds_read_b64 v[206:207], v54 offset:36224                   // 0000000057A0: D8EC8D80 CE000036
	ds_read_b64 v[208:209], v54 offset:37120                   // 0000000057A8: D8EC9100 D0000036
	ds_read_b64 v[210:211], v54 offset:37248                   // 0000000057B0: D8EC9180 D2000036
	ds_read_b64 v[212:213], v54 offset:38144                   // 0000000057B8: D8EC9500 D4000036
	ds_read_b64 v[214:215], v54 offset:38272                   // 0000000057C0: D8EC9580 D6000036
	ds_read_b64 v[216:217], v54 offset:39168                   // 0000000057C8: D8EC9900 D8000036
	ds_read_b64 v[218:219], v54 offset:39296                   // 0000000057D0: D8EC9980 DA000036
	ds_read_b64 v[220:221], v54 offset:40192                   // 0000000057D8: D8EC9D00 DC000036
	ds_read_b64 v[222:223], v54 offset:40320                   // 0000000057E0: D8EC9D80 DE000036
	ds_read_b64 v[224:225], v54 offset:41216                   // 0000000057E8: D8ECA100 E0000036
	ds_read_b64 v[226:227], v54 offset:41344                   // 0000000057F0: D8ECA180 E2000036
	ds_read_b64 v[228:229], v54 offset:42240                   // 0000000057F8: D8ECA500 E4000036
	ds_read_b64 v[230:231], v54 offset:42368                   // 000000005800: D8ECA580 E6000036
	ds_read_b64 v[232:233], v54 offset:43264                   // 000000005808: D8ECA900 E8000036
	ds_read_b64 v[234:235], v54 offset:43392                   // 000000005810: D8ECA980 EA000036
	ds_read_b64 v[236:237], v54 offset:44288                   // 000000005818: D8ECAD00 EC000036
	ds_read_b64 v[238:239], v54 offset:44416                   // 000000005820: D8ECAD80 EE000036
	ds_read_b64 v[240:241], v54 offset:45312                   // 000000005828: D8ECB100 F0000036
	ds_read_b64 v[242:243], v54 offset:45440                   // 000000005830: D8ECB180 F2000036
	ds_read_b64 v[244:245], v54 offset:46336                   // 000000005838: D8ECB500 F4000036
	ds_read_b64 v[246:247], v54 offset:46464                   // 000000005840: D8ECB580 F6000036
	ds_read_b64 v[248:249], v54 offset:47360                   // 000000005848: D8ECB900 F8000036
	ds_read_b64 v[250:251], v54 offset:47488                   // 000000005850: D8ECB980 FA000036
	ds_read_b64 v[252:253], v54 offset:48384                   // 000000005858: D8ECBD00 FC000036
	ds_read_b64 v[254:255], v54 offset:48512                   // 000000005860: D8ECBD80 FE000036
	s_add_u32 s12, s56, s12                                    // 000000005868: 800C0C38
	s_addc_u32 s13, 0, s13                                     // 00000000586C: 820D0D80
	v_mov_b32_e32 v64, 0                                       // 000000005870: 7E800280
	v_mov_b32_e32 v80, 0                                       // 000000005874: 7EA00280
	v_mov_b32_e32 v65, 0                                       // 000000005878: 7E820280
	v_mov_b32_e32 v81, 0                                       // 00000000587C: 7EA20280
	v_mov_b32_e32 v66, 0                                       // 000000005880: 7E840280
	v_mov_b32_e32 v82, 0                                       // 000000005884: 7EA40280
	v_mov_b32_e32 v67, 0                                       // 000000005888: 7E860280
	v_mov_b32_e32 v83, 0                                       // 00000000588C: 7EA60280
	v_mov_b32_e32 v68, 0                                       // 000000005890: 7E880280
	v_mov_b32_e32 v84, 0                                       // 000000005894: 7EA80280
	v_mov_b32_e32 v69, 0                                       // 000000005898: 7E8A0280
	v_mov_b32_e32 v85, 0                                       // 00000000589C: 7EAA0280
	v_mov_b32_e32 v70, 0                                       // 0000000058A0: 7E8C0280
	v_mov_b32_e32 v86, 0                                       // 0000000058A4: 7EAC0280
	v_mov_b32_e32 v71, 0                                       // 0000000058A8: 7E8E0280
	v_mov_b32_e32 v87, 0                                       // 0000000058AC: 7EAE0280
	ds_write_b64 v3, v[64:65] offset:16640                     // 0000000058B0: D89A4100 00004003
	ds_write_b64 v3, v[66:67] offset:20992                     // 0000000058B8: D89A5200 00004203
	ds_write_b64 v3, v[68:69] offset:18816                     // 0000000058C0: D89A4980 00004403
	ds_write_b64 v3, v[70:71] offset:23168                     // 0000000058C8: D89A5A80 00004603
	s_mov_b32 s80, 0                                           // 0000000058D0: BED00080
	s_waitcnt vmcnt(24)                                        // 0000000058D4: BF8C4F78

00000000000058d8 <label_0AB6>:
	s_waitcnt vmcnt(30) lgkmcnt(0)                             // 0000000058D8: BF8C407E
	s_barrier                                                  // 0000000058DC: BF8A0000
	v_mfma_f32_16x16x16_bf16 v[64:67], a[0:1], v[128:129], 0   // 0000000058E0: D3E10040 0A030100
	ds_read_b32 v10, v4 offset:16640                           // 0000000058E8: D86C4100 0A000004
	ds_read_b32 v11, v4 offset:16672                           // 0000000058F0: D86C4120 0B000004
	v_mfma_f32_16x16x16_bf16 v[64:67], a[2:3], v[130:131], v[64:67]// 0000000058F8: D3E10040 0D030502
	buffer_load_dwordx4 a[128:131], v18, s[12:15], 0 offen     // 000000005900: E05C1000 80838012
	v_mfma_f32_16x16x16_bf16 v[64:67], a[4:5], v[132:133], v[64:67]// 000000005908: D3E10040 0D030904
	ds_read_b32 v12, v4 offset:16704                           // 000000005910: D86C4140 0C000004
	ds_read_b32 v13, v4 offset:16736                           // 000000005918: D86C4160 0D000004
	v_mfma_f32_16x16x16_bf16 v[64:67], a[6:7], v[134:135], v[64:67]// 000000005920: D3E10040 0D030D06
	v_mfma_f32_16x16x16_bf16 v[64:67], a[8:9], v[136:137], v[64:67]// 000000005928: D3E10040 0D031108
	ds_read_b32 v14, v4 offset:20992                           // 000000005930: D86C5200 0E000004
	ds_read_b32 v15, v4 offset:21024                           // 000000005938: D86C5220 0F000004
	v_mfma_f32_16x16x16_bf16 v[64:67], a[10:11], v[138:139], v[64:67]// 000000005940: D3E10040 0D03150A
	buffer_load_dwordx4 a[132:135], v18, s[12:15], 0 offen offset:1024// 000000005948: E05C1400 80838412
	v_mfma_f32_16x16x16_bf16 v[64:67], a[12:13], v[140:141], v[64:67]// 000000005950: D3E10040 0D03190C
	ds_read_b32 v16, v4 offset:21056                           // 000000005958: D86C5240 10000004
	ds_read_b32 v17, v4 offset:21088                           // 000000005960: D86C5260 11000004
	v_mfma_f32_16x16x16_bf16 v[64:67], a[14:15], v[142:143], v[64:67]// 000000005968: D3E10040 0D031D0E
	v_mfma_f32_16x16x16_bf16 v[68:71], a[0:1], v[192:193], 0   // 000000005970: D3E10044 0A038100
	v_mfma_f32_16x16x16_bf16 v[68:71], a[2:3], v[194:195], v[68:71]// 000000005978: D3E10044 0D138502
	buffer_load_dwordx4 a[136:139], v18, s[12:15], 0 offen offset:2048// 000000005980: E05C1800 80838812
	v_mfma_f32_16x16x16_bf16 v[68:71], a[4:5], v[196:197], v[68:71]// 000000005988: D3E10044 0D138904
	v_mfma_f32_16x16x16_bf16 v[68:71], a[6:7], v[198:199], v[68:71]// 000000005990: D3E10044 0D138D06
	v_mfma_f32_16x16x16_bf16 v[68:71], a[8:9], v[200:201], v[68:71]// 000000005998: D3E10044 0D139108
	v_mfma_f32_16x16x16_bf16 v[68:71], a[10:11], v[202:203], v[68:71]// 0000000059A0: D3E10044 0D13950A
	buffer_load_dwordx4 a[140:143], v18, s[12:15], 0 offen offset:3072// 0000000059A8: E05C1C00 80838C12
	v_mfma_f32_16x16x16_bf16 v[68:71], a[12:13], v[204:205], v[68:71]// 0000000059B0: D3E10044 0D13990C
	v_mfma_f32_16x16x16_bf16 v[68:71], a[14:15], v[206:207], v[68:71]// 0000000059B8: D3E10044 0D139D0E
	s_waitcnt lgkmcnt(0)                                       // 0000000059C0: BF8CC07F
	s_mov_b64 exec, s[16:17]                                   // 0000000059C4: BEFE0110
	global_atomic_pk_add_f16 v34, v10, s[8:9]                  // 0000000059C8: DD388000 00080A22
	s_mov_b64 exec, s[38:39]                                   // 0000000059D0: BEFE0126
	v_mfma_f32_16x16x16_bf16 v[72:75], a[16:17], v[128:129], 0 // 0000000059D4: D3E10048 0A030110
	v_mfma_f32_16x16x16_bf16 v[72:75], a[18:19], v[130:131], v[72:75]// 0000000059DC: D3E10048 0D230512
	buffer_load_dwordx4 a[144:147], v19, s[12:15], 0 offen     // 0000000059E4: E05C1000 80839013
	v_mfma_f32_16x16x16_bf16 v[72:75], a[20:21], v[132:133], v[72:75]// 0000000059EC: D3E10048 0D230914
	v_mfma_f32_16x16x16_bf16 v[72:75], a[22:23], v[134:135], v[72:75]// 0000000059F4: D3E10048 0D230D16
	v_mfma_f32_16x16x16_bf16 v[72:75], a[24:25], v[136:137], v[72:75]// 0000000059FC: D3E10048 0D231118
	v_mfma_f32_16x16x16_bf16 v[72:75], a[26:27], v[138:139], v[72:75]// 000000005A04: D3E10048 0D23151A
	buffer_load_dwordx4 a[148:151], v19, s[12:15], 0 offen offset:1024// 000000005A0C: E05C1400 80839413
	v_mfma_f32_16x16x16_bf16 v[72:75], a[28:29], v[140:141], v[72:75]// 000000005A14: D3E10048 0D23191C
	v_mfma_f32_16x16x16_bf16 v[72:75], a[30:31], v[142:143], v[72:75]// 000000005A1C: D3E10048 0D231D1E
	v_mfma_f32_16x16x16_bf16 v[76:79], a[16:17], v[192:193], 0 // 000000005A24: D3E1004C 0A038110
	v_mfma_f32_16x16x16_bf16 v[76:79], a[18:19], v[194:195], v[76:79]// 000000005A2C: D3E1004C 0D338512
	buffer_load_dwordx4 a[152:155], v19, s[12:15], 0 offen offset:2048// 000000005A34: E05C1800 80839813
	v_mfma_f32_16x16x16_bf16 v[76:79], a[20:21], v[196:197], v[76:79]// 000000005A3C: D3E1004C 0D338914
	v_mfma_f32_16x16x16_bf16 v[76:79], a[22:23], v[198:199], v[76:79]// 000000005A44: D3E1004C 0D338D16
	v_mfma_f32_16x16x16_bf16 v[76:79], a[24:25], v[200:201], v[76:79]// 000000005A4C: D3E1004C 0D339118
	v_mfma_f32_16x16x16_bf16 v[76:79], a[26:27], v[202:203], v[76:79]// 000000005A54: D3E1004C 0D33951A
	buffer_load_dwordx4 a[156:159], v19, s[12:15], 0 offen offset:3072// 000000005A5C: E05C1C00 80839C13
	v_mfma_f32_16x16x16_bf16 v[76:79], a[28:29], v[204:205], v[76:79]// 000000005A64: D3E1004C 0D33991C
	v_mfma_f32_16x16x16_bf16 v[76:79], a[30:31], v[206:207], v[76:79]// 000000005A6C: D3E1004C 0D339D1E
	s_mov_b64 exec, s[18:19]                                   // 000000005A74: BEFE0112
	global_atomic_pk_add_f16 v36, v11, s[8:9]                  // 000000005A78: DD388000 00080B24
	s_mov_b64 exec, s[38:39]                                   // 000000005A80: BEFE0126
	s_waitcnt vmcnt(30)                                        // 000000005A84: BF8C4F7E
	v_mfma_f32_16x16x16_bf16 v[64:67], a[32:33], v[144:145], v[64:67]// 000000005A88: D3E10040 0D032120
	ds_write_b64 v3, v[80:81] offset:25344                     // 000000005A90: D89A6300 00005003
	v_mfma_f32_16x16x16_bf16 v[64:67], a[34:35], v[146:147], v[64:67]// 000000005A98: D3E10040 0D032522
	buffer_load_dwordx4 a[160:163], v20, s[12:15], 0 offen     // 000000005AA0: E05C1000 8083A014
	v_mfma_f32_16x16x16_bf16 v[64:67], a[36:37], v[148:149], v[64:67]// 000000005AA8: D3E10040 0D032924
	ds_write_b64 v3, v[82:83] offset:29696                     // 000000005AB0: D89A7400 00005203
	v_mfma_f32_16x16x16_bf16 v[64:67], a[38:39], v[150:151], v[64:67]// 000000005AB8: D3E10040 0D032D26
	v_mfma_f32_16x16x16_bf16 v[64:67], a[40:41], v[152:153], v[64:67]// 000000005AC0: D3E10040 0D033128
	ds_write_b64 v3, v[84:85] offset:27520                     // 000000005AC8: D89A6B80 00005403
	v_mfma_f32_16x16x16_bf16 v[64:67], a[42:43], v[154:155], v[64:67]// 000000005AD0: D3E10040 0D03352A
	buffer_load_dwordx4 a[164:167], v20, s[12:15], 0 offen offset:1024// 000000005AD8: E05C1400 8083A414
	v_mfma_f32_16x16x16_bf16 v[64:67], a[44:45], v[156:157], v[64:67]// 000000005AE0: D3E10040 0D03392C
	ds_write_b64 v3, v[86:87] offset:31872                     // 000000005AE8: D89A7C80 00005603
	v_mfma_f32_16x16x16_bf16 v[64:67], a[46:47], v[158:159], v[64:67]// 000000005AF0: D3E10040 0D033D2E
	v_mfma_f32_16x16x16_bf16 v[68:71], a[32:33], v[208:209], v[68:71]// 000000005AF8: D3E10044 0D13A120
	v_mfma_f32_16x16x16_bf16 v[68:71], a[34:35], v[210:211], v[68:71]// 000000005B00: D3E10044 0D13A522
	buffer_load_dwordx4 a[168:171], v20, s[12:15], 0 offen offset:2048// 000000005B08: E05C1800 8083A814
	v_mfma_f32_16x16x16_bf16 v[68:71], a[36:37], v[212:213], v[68:71]// 000000005B10: D3E10044 0D13A924
	v_mfma_f32_16x16x16_bf16 v[68:71], a[38:39], v[214:215], v[68:71]// 000000005B18: D3E10044 0D13AD26
	v_mfma_f32_16x16x16_bf16 v[68:71], a[40:41], v[216:217], v[68:71]// 000000005B20: D3E10044 0D13B128
	v_mfma_f32_16x16x16_bf16 v[68:71], a[42:43], v[218:219], v[68:71]// 000000005B28: D3E10044 0D13B52A
	buffer_load_dwordx4 a[172:175], v20, s[12:15], 0 offen offset:3072// 000000005B30: E05C1C00 8083AC14
	v_mfma_f32_16x16x16_bf16 v[68:71], a[44:45], v[220:221], v[68:71]// 000000005B38: D3E10044 0D13B92C
	v_mfma_f32_16x16x16_bf16 v[68:71], a[46:47], v[222:223], v[68:71]// 000000005B40: D3E10044 0D13BD2E
	s_mov_b64 exec, s[20:21]                                   // 000000005B48: BEFE0114
	global_atomic_pk_add_f16 v38, v12, s[8:9]                  // 000000005B4C: DD388000 00080C26
	s_mov_b64 exec, s[38:39]                                   // 000000005B54: BEFE0126
	v_mfma_f32_16x16x16_bf16 v[72:75], a[48:49], v[144:145], v[72:75]// 000000005B58: D3E10048 0D232130
	v_mfma_f32_16x16x16_bf16 v[72:75], a[50:51], v[146:147], v[72:75]// 000000005B60: D3E10048 0D232532
	buffer_load_dwordx4 a[176:179], v21, s[12:15], 0 offen     // 000000005B68: E05C1000 8083B015
	v_mfma_f32_16x16x16_bf16 v[72:75], a[52:53], v[148:149], v[72:75]// 000000005B70: D3E10048 0D232934
	v_mfma_f32_16x16x16_bf16 v[72:75], a[54:55], v[150:151], v[72:75]// 000000005B78: D3E10048 0D232D36
	v_mfma_f32_16x16x16_bf16 v[72:75], a[56:57], v[152:153], v[72:75]// 000000005B80: D3E10048 0D233138
	v_mfma_f32_16x16x16_bf16 v[72:75], a[58:59], v[154:155], v[72:75]// 000000005B88: D3E10048 0D23353A
	buffer_load_dwordx4 a[180:183], v21, s[12:15], 0 offen offset:1024// 000000005B90: E05C1400 8083B415
	v_mfma_f32_16x16x16_bf16 v[72:75], a[60:61], v[156:157], v[72:75]// 000000005B98: D3E10048 0D23393C
	v_mfma_f32_16x16x16_bf16 v[72:75], a[62:63], v[158:159], v[72:75]// 000000005BA0: D3E10048 0D233D3E
	v_mfma_f32_16x16x16_bf16 v[76:79], a[48:49], v[208:209], v[76:79]// 000000005BA8: D3E1004C 0D33A130
	v_mfma_f32_16x16x16_bf16 v[76:79], a[50:51], v[210:211], v[76:79]// 000000005BB0: D3E1004C 0D33A532
	buffer_load_dwordx4 a[184:187], v21, s[12:15], 0 offen offset:2048// 000000005BB8: E05C1800 8083B815
	v_mfma_f32_16x16x16_bf16 v[76:79], a[52:53], v[212:213], v[76:79]// 000000005BC0: D3E1004C 0D33A934
	v_mfma_f32_16x16x16_bf16 v[76:79], a[54:55], v[214:215], v[76:79]// 000000005BC8: D3E1004C 0D33AD36
	v_mfma_f32_16x16x16_bf16 v[76:79], a[56:57], v[216:217], v[76:79]// 000000005BD0: D3E1004C 0D33B138
	v_mfma_f32_16x16x16_bf16 v[76:79], a[58:59], v[218:219], v[76:79]// 000000005BD8: D3E1004C 0D33B53A
	buffer_load_dwordx4 a[188:191], v21, s[12:15], 0 offen offset:3072// 000000005BE0: E05C1C00 8083BC15
	v_mfma_f32_16x16x16_bf16 v[76:79], a[60:61], v[220:221], v[76:79]// 000000005BE8: D3E1004C 0D33B93C
	v_mfma_f32_16x16x16_bf16 v[76:79], a[62:63], v[222:223], v[76:79]// 000000005BF0: D3E1004C 0D33BD3E
	s_mov_b64 exec, s[22:23]                                   // 000000005BF8: BEFE0116
	global_atomic_pk_add_f16 v40, v13, s[8:9]                  // 000000005BFC: DD388000 00080D28
	s_mov_b64 exec, s[38:39]                                   // 000000005C04: BEFE0126
	s_waitcnt vmcnt(30)                                        // 000000005C08: BF8C4F7E
	v_mfma_f32_16x16x16_bf16 v[64:67], a[64:65], v[160:161], v[64:67]// 000000005C0C: D3E10040 0D034140
	v_mfma_f32_16x16x16_bf16 v[64:67], a[66:67], v[162:163], v[64:67]// 000000005C14: D3E10040 0D034542
	buffer_load_dwordx4 a[192:195], v22, s[12:15], 0 offen     // 000000005C1C: E05C1000 8083C016
	v_mfma_f32_16x16x16_bf16 v[64:67], a[68:69], v[164:165], v[64:67]// 000000005C24: D3E10040 0D034944
	s_add_u32 s60, 0x100, s80                                  // 000000005C2C: 803C50FF 00000100
	s_cmp_lt_u32 s60, s81                                      // 000000005C34: BF0A513C
	s_cselect_b32 s56, s56, 0                                  // 000000005C38: 85388038
	v_mfma_f32_16x16x16_bf16 v[64:67], a[70:71], v[166:167], v[64:67]// 000000005C3C: D3E10040 0D034D46
	v_mfma_f32_16x16x16_bf16 v[64:67], a[72:73], v[168:169], v[64:67]// 000000005C44: D3E10040 0D035148
	v_mfma_f32_16x16x16_bf16 v[64:67], a[74:75], v[170:171], v[64:67]// 000000005C4C: D3E10040 0D03554A
	buffer_load_dwordx4 a[196:199], v22, s[12:15], 0 offen offset:1024// 000000005C54: E05C1400 8083C416
	v_mfma_f32_16x16x16_bf16 v[64:67], a[76:77], v[172:173], v[64:67]// 000000005C5C: D3E10040 0D03594C
	s_cmp_ge_u32 s80, 0x100                                    // 000000005C64: BF09FF50 00000100
	s_cselect_b32 s59, 0x100, s59                              // 000000005C6C: 853B3BFF 00000100
	v_mfma_f32_16x16x16_bf16 v[64:67], a[78:79], v[174:175], v[64:67]// 000000005C74: D3E10040 0D035D4E
	v_mfma_f32_16x16x16_bf16 v[68:71], a[64:65], v[224:225], v[68:71]// 000000005C7C: D3E10044 0D13C140
	v_mfma_f32_16x16x16_bf16 v[68:71], a[66:67], v[226:227], v[68:71]// 000000005C84: D3E10044 0D13C542
	buffer_load_dwordx4 a[200:203], v22, s[12:15], 0 offen offset:2048// 000000005C8C: E05C1800 8083C816
	v_mfma_f32_16x16x16_bf16 v[68:71], a[68:69], v[228:229], v[68:71]// 000000005C94: D3E10044 0D13C944
	s_add_u32 s16, s57, s16                                    // 000000005C9C: 80101039
	s_addc_u32 s17, 0, s17                                     // 000000005CA0: 82111180
	v_mfma_f32_16x16x16_bf16 v[68:71], a[70:71], v[230:231], v[68:71]// 000000005CA4: D3E10044 0D13CD46
	v_mfma_f32_16x16x16_bf16 v[68:71], a[72:73], v[232:233], v[68:71]// 000000005CAC: D3E10044 0D13D148
	v_mfma_f32_16x16x16_bf16 v[68:71], a[74:75], v[234:235], v[68:71]// 000000005CB4: D3E10044 0D13D54A
	buffer_load_dwordx4 a[204:207], v22, s[12:15], 0 offen offset:3072// 000000005CBC: E05C1C00 8083CC16
	v_mfma_f32_16x16x16_bf16 v[68:71], a[76:77], v[236:237], v[68:71]// 000000005CC4: D3E10044 0D13D94C
	v_mfma_f32_16x16x16_bf16 v[68:71], a[78:79], v[238:239], v[68:71]// 000000005CCC: D3E10044 0D13DD4E
	s_mov_b64 exec, s[24:25]                                   // 000000005CD4: BEFE0118
	global_atomic_pk_add_f16 v42, v14, s[8:9]                  // 000000005CD8: DD388000 00080E2A
	s_mov_b64 exec, s[38:39]                                   // 000000005CE0: BEFE0126
	v_mfma_f32_16x16x16_bf16 v[72:75], a[80:81], v[160:161], v[72:75]// 000000005CE4: D3E10048 0D234150
	v_mfma_f32_16x16x16_bf16 v[72:75], a[82:83], v[162:163], v[72:75]// 000000005CEC: D3E10048 0D234552
	buffer_load_dwordx4 a[208:211], v23, s[12:15], 0 offen     // 000000005CF4: E05C1000 8083D017
	v_mfma_f32_16x16x16_bf16 v[72:75], a[84:85], v[164:165], v[72:75]// 000000005CFC: D3E10048 0D234954
	v_mfma_f32_16x16x16_bf16 v[72:75], a[86:87], v[166:167], v[72:75]// 000000005D04: D3E10048 0D234D56
	v_mfma_f32_16x16x16_bf16 v[72:75], a[88:89], v[168:169], v[72:75]// 000000005D0C: D3E10048 0D235158
	v_mfma_f32_16x16x16_bf16 v[72:75], a[90:91], v[170:171], v[72:75]// 000000005D14: D3E10048 0D23555A
	buffer_load_dwordx4 a[212:215], v23, s[12:15], 0 offen offset:1024// 000000005D1C: E05C1400 8083D417
	v_mfma_f32_16x16x16_bf16 v[72:75], a[92:93], v[172:173], v[72:75]// 000000005D24: D3E10048 0D23595C
	v_mfma_f32_16x16x16_bf16 v[72:75], a[94:95], v[174:175], v[72:75]// 000000005D2C: D3E10048 0D235D5E
	v_mfma_f32_16x16x16_bf16 v[76:79], a[80:81], v[224:225], v[76:79]// 000000005D34: D3E1004C 0D33C150
	v_mfma_f32_16x16x16_bf16 v[76:79], a[82:83], v[226:227], v[76:79]// 000000005D3C: D3E1004C 0D33C552
	buffer_load_dwordx4 a[216:219], v23, s[12:15], 0 offen offset:2048// 000000005D44: E05C1800 8083D817
	v_mfma_f32_16x16x16_bf16 v[76:79], a[84:85], v[228:229], v[76:79]// 000000005D4C: D3E1004C 0D33C954
	v_mfma_f32_16x16x16_bf16 v[76:79], a[86:87], v[230:231], v[76:79]// 000000005D54: D3E1004C 0D33CD56
	v_mfma_f32_16x16x16_bf16 v[76:79], a[88:89], v[232:233], v[76:79]// 000000005D5C: D3E1004C 0D33D158
	v_mfma_f32_16x16x16_bf16 v[76:79], a[90:91], v[234:235], v[76:79]// 000000005D64: D3E1004C 0D33D55A
	buffer_load_dwordx4 a[220:223], v23, s[12:15], 0 offen offset:3072// 000000005D6C: E05C1C00 8083DC17
	v_mfma_f32_16x16x16_bf16 v[76:79], a[92:93], v[236:237], v[76:79]// 000000005D74: D3E1004C 0D33D95C
	v_mfma_f32_16x16x16_bf16 v[76:79], a[94:95], v[238:239], v[76:79]// 000000005D7C: D3E1004C 0D33DD5E
	s_mov_b64 exec, s[26:27]                                   // 000000005D84: BEFE011A
	global_atomic_pk_add_f16 v44, v15, s[8:9]                  // 000000005D88: DD388000 00080F2C
	s_mov_b64 exec, s[38:39]                                   // 000000005D90: BEFE0126
	s_waitcnt vmcnt(30)                                        // 000000005D94: BF8C4F7E
	v_mfma_f32_16x16x16_bf16 v[64:67], a[96:97], v[176:177], v[64:67]// 000000005D98: D3E10040 0D036160
	v_mfma_f32_16x16x16_bf16 v[64:67], a[98:99], v[178:179], v[64:67]// 000000005DA0: D3E10040 0D036562
	buffer_load_dwordx4 a[224:227], v24, s[12:15], 0 offen     // 000000005DA8: E05C1000 8083E018
	v_mfma_f32_16x16x16_bf16 v[64:67], a[100:101], v[180:181], v[64:67]// 000000005DB0: D3E10040 0D036964
	v_mfma_f32_16x16x16_bf16 v[64:67], a[102:103], v[182:183], v[64:67]// 000000005DB8: D3E10040 0D036D66
	v_mfma_f32_16x16x16_bf16 v[64:67], a[104:105], v[184:185], v[64:67]// 000000005DC0: D3E10040 0D037168
	v_mfma_f32_16x16x16_bf16 v[64:67], a[106:107], v[186:187], v[64:67]// 000000005DC8: D3E10040 0D03756A
	buffer_load_dwordx4 a[228:231], v24, s[12:15], 0 offen offset:1024// 000000005DD0: E05C1400 8083E418
	v_mfma_f32_16x16x16_bf16 v[64:67], a[108:109], v[188:189], v[64:67]// 000000005DD8: D3E10040 0D03796C
	v_mfma_f32_16x16x16_bf16 v[64:67], a[110:111], v[190:191], v[64:67]// 000000005DE0: D3E10040 0D037D6E
	v_mfma_f32_16x16x16_bf16 v[68:71], a[96:97], v[240:241], v[68:71]// 000000005DE8: D3E10044 0D13E160
	v_mfma_f32_16x16x16_bf16 v[68:71], a[98:99], v[242:243], v[68:71]// 000000005DF0: D3E10044 0D13E562
	buffer_load_dwordx4 a[232:235], v24, s[12:15], 0 offen offset:2048// 000000005DF8: E05C1800 8083E818
	v_mfma_f32_16x16x16_bf16 v[68:71], a[100:101], v[244:245], v[68:71]// 000000005E00: D3E10044 0D13E964
	v_mfma_f32_16x16x16_bf16 v[68:71], a[102:103], v[246:247], v[68:71]// 000000005E08: D3E10044 0D13ED66
	v_mfma_f32_16x16x16_bf16 v[68:71], a[104:105], v[248:249], v[68:71]// 000000005E10: D3E10044 0D13F168
	v_mfma_f32_16x16x16_bf16 v[68:71], a[106:107], v[250:251], v[68:71]// 000000005E18: D3E10044 0D13F56A
	buffer_load_dwordx4 a[236:239], v24, s[12:15], 0 offen offset:3072// 000000005E20: E05C1C00 8083EC18
	v_mfma_f32_16x16x16_bf16 v[68:71], a[108:109], v[252:253], v[68:71]// 000000005E28: D3E10044 0D13F96C
	v_mfma_f32_16x16x16_bf16 v[68:71], a[110:111], v[254:255], v[68:71]// 000000005E30: D3E10044 0D13FD6E
	s_mov_b64 exec, s[28:29]                                   // 000000005E38: BEFE011C
	global_atomic_pk_add_f16 v46, v16, s[8:9]                  // 000000005E3C: DD388000 0008102E
	s_mov_b64 exec, s[38:39]                                   // 000000005E44: BEFE0126
	v_mfma_f32_16x16x16_bf16 v[72:75], a[112:113], v[176:177], v[72:75]// 000000005E48: D3E10048 0D236170
	v_mfma_f32_16x16x16_bf16 v[72:75], a[114:115], v[178:179], v[72:75]// 000000005E50: D3E10048 0D236572
	buffer_load_dwordx4 a[240:243], v25, s[12:15], 0 offen     // 000000005E58: E05C1000 8083F019
	v_mfma_f32_16x16x16_bf16 v[72:75], a[116:117], v[180:181], v[72:75]// 000000005E60: D3E10048 0D236974
	v_mfma_f32_16x16x16_bf16 v[72:75], a[118:119], v[182:183], v[72:75]// 000000005E68: D3E10048 0D236D76
	v_mfma_f32_16x16x16_bf16 v[72:75], a[120:121], v[184:185], v[72:75]// 000000005E70: D3E10048 0D237178
	v_mfma_f32_16x16x16_bf16 v[72:75], a[122:123], v[186:187], v[72:75]// 000000005E78: D3E10048 0D23757A
	buffer_load_dwordx4 a[244:247], v25, s[12:15], 0 offen offset:1024// 000000005E80: E05C1400 8083F419
	v_mfma_f32_16x16x16_bf16 v[72:75], a[124:125], v[188:189], v[72:75]// 000000005E88: D3E10048 0D23797C
	v_mfma_f32_16x16x16_bf16 v[72:75], a[126:127], v[190:191], v[72:75]// 000000005E90: D3E10048 0D237D7E
	v_mfma_f32_16x16x16_bf16 v[76:79], a[112:113], v[240:241], v[76:79]// 000000005E98: D3E1004C 0D33E170
	v_mfma_f32_16x16x16_bf16 v[76:79], a[114:115], v[242:243], v[76:79]// 000000005EA0: D3E1004C 0D33E572
	buffer_load_dwordx4 a[248:251], v25, s[12:15], 0 offen offset:2048// 000000005EA8: E05C1800 8083F819
	v_mfma_f32_16x16x16_bf16 v[76:79], a[116:117], v[244:245], v[76:79]// 000000005EB0: D3E1004C 0D33E974
	v_mfma_f32_16x16x16_bf16 v[76:79], a[118:119], v[246:247], v[76:79]// 000000005EB8: D3E1004C 0D33ED76
	v_mfma_f32_16x16x16_bf16 v[76:79], a[120:121], v[248:249], v[76:79]// 000000005EC0: D3E1004C 0D33F178
	v_mfma_f32_16x16x16_bf16 v[76:79], a[122:123], v[250:251], v[76:79]// 000000005EC8: D3E1004C 0D33F57A
	buffer_load_dwordx4 a[252:255], v25, s[12:15], 0 offen offset:3072// 000000005ED0: E05C1C00 8083FC19
	v_mfma_f32_16x16x16_bf16 v[76:79], a[124:125], v[252:253], v[76:79]// 000000005ED8: D3E1004C 0D33F97C
	s_add_u32 s12, s56, s12                                    // 000000005EE0: 800C0C38
	s_addc_u32 s13, 0, s13                                     // 000000005EE4: 820D0D80
	v_mfma_f32_16x16x16_bf16 v[76:79], a[126:127], v[254:255], v[76:79]// 000000005EE8: D3E1004C 0D33FD7E
	s_mov_b64 exec, s[30:31]                                   // 000000005EF0: BEFE011E
	global_atomic_pk_add_f16 v48, v17, s[8:9]                  // 000000005EF4: DD388000 00081130
	s_mov_b64 exec, s[38:39]                                   // 000000005EFC: BEFE0126
	s_add_u32 s8, s59, s8                                      // 000000005F00: 8008083B
	s_addc_u32 s9, 0, s9                                       // 000000005F04: 82090980
	v_mul_f32_e32 v64, v8, v64                                 // 000000005F08: 0A808108
	v_mul_f32_e32 v65, v8, v65                                 // 000000005F0C: 0A828308
	v_mul_f32_e32 v66, v8, v66                                 // 000000005F10: 0A848508
	v_mul_f32_e32 v67, v8, v67                                 // 000000005F14: 0A868708
	v_mul_f32_e32 v68, v9, v68                                 // 000000005F18: 0A888909
	v_mul_f32_e32 v69, v9, v69                                 // 000000005F1C: 0A8A8B09
	v_mul_f32_e32 v70, v9, v70                                 // 000000005F20: 0A8C8D09
	v_mul_f32_e32 v71, v9, v71                                 // 000000005F24: 0A8E8F09
	v_mul_f32_e32 v72, v8, v72                                 // 000000005F28: 0A909108
	v_mul_f32_e32 v73, v8, v73                                 // 000000005F2C: 0A929308
	v_mul_f32_e32 v74, v8, v74                                 // 000000005F30: 0A949508
	v_mul_f32_e32 v75, v8, v75                                 // 000000005F34: 0A969708
	v_mul_f32_e32 v76, v9, v76                                 // 000000005F38: 0A989909
	v_mul_f32_e32 v77, v9, v77                                 // 000000005F3C: 0A9A9B09
	v_mul_f32_e32 v78, v9, v78                                 // 000000005F40: 0A9C9D09
	v_mul_f32_e32 v79, v9, v79                                 // 000000005F44: 0A9E9F09
	v_cvt_pkrtz_f16_f32 v64, v64, v65                          // 000000005F48: D2960040 00028340
	v_cvt_pkrtz_f16_f32 v65, v66, v67                          // 000000005F50: D2960041 00028742
	v_cvt_pkrtz_f16_f32 v66, v68, v69                          // 000000005F58: D2960042 00028B44
	v_cvt_pkrtz_f16_f32 v67, v70, v71                          // 000000005F60: D2960043 00028F46
	v_cvt_pkrtz_f16_f32 v68, v72, v73                          // 000000005F68: D2960044 00029348
	v_cvt_pkrtz_f16_f32 v69, v74, v75                          // 000000005F70: D2960045 0002974A
	v_cvt_pkrtz_f16_f32 v70, v76, v77                          // 000000005F78: D2960046 00029B4C
	v_cvt_pkrtz_f16_f32 v71, v78, v79                          // 000000005F80: D2960047 00029F4E
	s_addk_i32 s80, 0x80                                       // 000000005F88: B7500080
	s_cmp_lt_i32 s80, s81                                      // 000000005F8C: BF045150
	s_cbranch_scc0 label_0E15                                  // 000000005F90: BF8401B0
	s_waitcnt vmcnt(30) lgkmcnt(0)                             // 000000005F94: BF8C407E
	s_barrier                                                  // 000000005F98: BF8A0000
	v_mfma_f32_16x16x16_bf16 v[80:83], a[128:129], v[128:129], 0// 000000005F9C: D3E10050 0A030180
	ds_read_b32 v10, v4 offset:25344                           // 000000005FA4: D86C6300 0A000004
	ds_read_b32 v11, v4 offset:25376                           // 000000005FAC: D86C6320 0B000004
	v_mfma_f32_16x16x16_bf16 v[80:83], a[130:131], v[130:131], v[80:83]// 000000005FB4: D3E10050 0D430582
	buffer_load_dwordx4 a[0:3], v18, s[12:15], 0 offen         // 000000005FBC: E05C1000 80830012
	v_mfma_f32_16x16x16_bf16 v[80:83], a[132:133], v[132:133], v[80:83]// 000000005FC4: D3E10050 0D430984
	ds_read_b32 v12, v4 offset:25408                           // 000000005FCC: D86C6340 0C000004
	ds_read_b32 v13, v4 offset:25440                           // 000000005FD4: D86C6360 0D000004
	v_mfma_f32_16x16x16_bf16 v[80:83], a[134:135], v[134:135], v[80:83]// 000000005FDC: D3E10050 0D430D86
	v_mfma_f32_16x16x16_bf16 v[80:83], a[136:137], v[136:137], v[80:83]// 000000005FE4: D3E10050 0D431188
	ds_read_b32 v14, v4 offset:29696                           // 000000005FEC: D86C7400 0E000004
	ds_read_b32 v15, v4 offset:29728                           // 000000005FF4: D86C7420 0F000004
	v_mfma_f32_16x16x16_bf16 v[80:83], a[138:139], v[138:139], v[80:83]// 000000005FFC: D3E10050 0D43158A
	buffer_load_dwordx4 a[4:7], v18, s[12:15], 0 offen offset:1024// 000000006004: E05C1400 80830412
	v_mfma_f32_16x16x16_bf16 v[80:83], a[140:141], v[140:141], v[80:83]// 00000000600C: D3E10050 0D43198C
	ds_read_b32 v16, v4 offset:29760                           // 000000006014: D86C7440 10000004
	ds_read_b32 v17, v4 offset:29792                           // 00000000601C: D86C7460 11000004
	v_mfma_f32_16x16x16_bf16 v[80:83], a[142:143], v[142:143], v[80:83]// 000000006024: D3E10050 0D431D8E
	v_mfma_f32_16x16x16_bf16 v[84:87], a[128:129], v[192:193], 0// 00000000602C: D3E10054 0A038180
	v_mfma_f32_16x16x16_bf16 v[84:87], a[130:131], v[194:195], v[84:87]// 000000006034: D3E10054 0D538582
	buffer_load_dwordx4 a[8:11], v18, s[12:15], 0 offen offset:2048// 00000000603C: E05C1800 80830812
	v_mfma_f32_16x16x16_bf16 v[84:87], a[132:133], v[196:197], v[84:87]// 000000006044: D3E10054 0D538984
	v_mfma_f32_16x16x16_bf16 v[84:87], a[134:135], v[198:199], v[84:87]// 00000000604C: D3E10054 0D538D86
	v_mfma_f32_16x16x16_bf16 v[84:87], a[136:137], v[200:201], v[84:87]// 000000006054: D3E10054 0D539188
	v_mfma_f32_16x16x16_bf16 v[84:87], a[138:139], v[202:203], v[84:87]// 00000000605C: D3E10054 0D53958A
	buffer_load_dwordx4 a[12:15], v18, s[12:15], 0 offen offset:3072// 000000006064: E05C1C00 80830C12
	v_mfma_f32_16x16x16_bf16 v[84:87], a[140:141], v[204:205], v[84:87]// 00000000606C: D3E10054 0D53998C
	v_mfma_f32_16x16x16_bf16 v[84:87], a[142:143], v[206:207], v[84:87]// 000000006074: D3E10054 0D539D8E
	s_waitcnt lgkmcnt(0)                                       // 00000000607C: BF8CC07F
	s_mov_b64 exec, s[16:17]                                   // 000000006080: BEFE0110
	global_atomic_pk_add_f16 v34, v10, s[8:9]                  // 000000006084: DD388000 00080A22
	s_mov_b64 exec, s[38:39]                                   // 00000000608C: BEFE0126
	v_mfma_f32_16x16x16_bf16 v[88:91], a[144:145], v[128:129], 0// 000000006090: D3E10058 0A030190
	v_mfma_f32_16x16x16_bf16 v[88:91], a[146:147], v[130:131], v[88:91]// 000000006098: D3E10058 0D630592
	buffer_load_dwordx4 a[16:19], v19, s[12:15], 0 offen       // 0000000060A0: E05C1000 80831013
	v_mfma_f32_16x16x16_bf16 v[88:91], a[148:149], v[132:133], v[88:91]// 0000000060A8: D3E10058 0D630994
	v_mfma_f32_16x16x16_bf16 v[88:91], a[150:151], v[134:135], v[88:91]// 0000000060B0: D3E10058 0D630D96
	v_mfma_f32_16x16x16_bf16 v[88:91], a[152:153], v[136:137], v[88:91]// 0000000060B8: D3E10058 0D631198
	v_mfma_f32_16x16x16_bf16 v[88:91], a[154:155], v[138:139], v[88:91]// 0000000060C0: D3E10058 0D63159A
	buffer_load_dwordx4 a[20:23], v19, s[12:15], 0 offen offset:1024// 0000000060C8: E05C1400 80831413
	v_mfma_f32_16x16x16_bf16 v[88:91], a[156:157], v[140:141], v[88:91]// 0000000060D0: D3E10058 0D63199C
	v_mfma_f32_16x16x16_bf16 v[88:91], a[158:159], v[142:143], v[88:91]// 0000000060D8: D3E10058 0D631D9E
	v_mfma_f32_16x16x16_bf16 v[92:95], a[144:145], v[192:193], 0// 0000000060E0: D3E1005C 0A038190
	v_mfma_f32_16x16x16_bf16 v[92:95], a[146:147], v[194:195], v[92:95]// 0000000060E8: D3E1005C 0D738592
	buffer_load_dwordx4 a[24:27], v19, s[12:15], 0 offen offset:2048// 0000000060F0: E05C1800 80831813
	v_mfma_f32_16x16x16_bf16 v[92:95], a[148:149], v[196:197], v[92:95]// 0000000060F8: D3E1005C 0D738994
	v_mfma_f32_16x16x16_bf16 v[92:95], a[150:151], v[198:199], v[92:95]// 000000006100: D3E1005C 0D738D96
	v_mfma_f32_16x16x16_bf16 v[92:95], a[152:153], v[200:201], v[92:95]// 000000006108: D3E1005C 0D739198
	v_mfma_f32_16x16x16_bf16 v[92:95], a[154:155], v[202:203], v[92:95]// 000000006110: D3E1005C 0D73959A
	buffer_load_dwordx4 a[28:31], v19, s[12:15], 0 offen offset:3072// 000000006118: E05C1C00 80831C13
	v_mfma_f32_16x16x16_bf16 v[92:95], a[156:157], v[204:205], v[92:95]// 000000006120: D3E1005C 0D73999C
	v_mfma_f32_16x16x16_bf16 v[92:95], a[158:159], v[206:207], v[92:95]// 000000006128: D3E1005C 0D739D9E
	s_mov_b64 exec, s[18:19]                                   // 000000006130: BEFE0112
	global_atomic_pk_add_f16 v36, v11, s[8:9]                  // 000000006134: DD388000 00080B24
	s_mov_b64 exec, s[38:39]                                   // 00000000613C: BEFE0126
	s_waitcnt vmcnt(30)                                        // 000000006140: BF8C4F7E
	v_mfma_f32_16x16x16_bf16 v[80:83], a[160:161], v[144:145], v[80:83]// 000000006144: D3E10050 0D4321A0
	ds_write_b64 v3, v[64:65] offset:16640                     // 00000000614C: D89A4100 00004003
	v_mfma_f32_16x16x16_bf16 v[80:83], a[162:163], v[146:147], v[80:83]// 000000006154: D3E10050 0D4325A2
	buffer_load_dwordx4 a[32:35], v20, s[12:15], 0 offen       // 00000000615C: E05C1000 80832014
	v_mfma_f32_16x16x16_bf16 v[80:83], a[164:165], v[148:149], v[80:83]// 000000006164: D3E10050 0D4329A4
	ds_write_b64 v3, v[66:67] offset:20992                     // 00000000616C: D89A5200 00004203
	v_mfma_f32_16x16x16_bf16 v[80:83], a[166:167], v[150:151], v[80:83]// 000000006174: D3E10050 0D432DA6
	v_mfma_f32_16x16x16_bf16 v[80:83], a[168:169], v[152:153], v[80:83]// 00000000617C: D3E10050 0D4331A8
	ds_write_b64 v3, v[68:69] offset:18816                     // 000000006184: D89A4980 00004403
	v_mfma_f32_16x16x16_bf16 v[80:83], a[170:171], v[154:155], v[80:83]// 00000000618C: D3E10050 0D4335AA
	buffer_load_dwordx4 a[36:39], v20, s[12:15], 0 offen offset:1024// 000000006194: E05C1400 80832414
	v_mfma_f32_16x16x16_bf16 v[80:83], a[172:173], v[156:157], v[80:83]// 00000000619C: D3E10050 0D4339AC
	ds_write_b64 v3, v[70:71] offset:23168                     // 0000000061A4: D89A5A80 00004603
	v_mfma_f32_16x16x16_bf16 v[80:83], a[174:175], v[158:159], v[80:83]// 0000000061AC: D3E10050 0D433DAE
	v_mfma_f32_16x16x16_bf16 v[84:87], a[160:161], v[208:209], v[84:87]// 0000000061B4: D3E10054 0D53A1A0
	v_mfma_f32_16x16x16_bf16 v[84:87], a[162:163], v[210:211], v[84:87]// 0000000061BC: D3E10054 0D53A5A2
	buffer_load_dwordx4 a[40:43], v20, s[12:15], 0 offen offset:2048// 0000000061C4: E05C1800 80832814
	v_mfma_f32_16x16x16_bf16 v[84:87], a[164:165], v[212:213], v[84:87]// 0000000061CC: D3E10054 0D53A9A4
	v_mfma_f32_16x16x16_bf16 v[84:87], a[166:167], v[214:215], v[84:87]// 0000000061D4: D3E10054 0D53ADA6
	v_mfma_f32_16x16x16_bf16 v[84:87], a[168:169], v[216:217], v[84:87]// 0000000061DC: D3E10054 0D53B1A8
	v_mfma_f32_16x16x16_bf16 v[84:87], a[170:171], v[218:219], v[84:87]// 0000000061E4: D3E10054 0D53B5AA
	buffer_load_dwordx4 a[44:47], v20, s[12:15], 0 offen offset:3072// 0000000061EC: E05C1C00 80832C14
	v_mfma_f32_16x16x16_bf16 v[84:87], a[172:173], v[220:221], v[84:87]// 0000000061F4: D3E10054 0D53B9AC
	v_mfma_f32_16x16x16_bf16 v[84:87], a[174:175], v[222:223], v[84:87]// 0000000061FC: D3E10054 0D53BDAE
	s_mov_b64 exec, s[20:21]                                   // 000000006204: BEFE0114
	global_atomic_pk_add_f16 v38, v12, s[8:9]                  // 000000006208: DD388000 00080C26
	s_mov_b64 exec, s[38:39]                                   // 000000006210: BEFE0126
	v_mfma_f32_16x16x16_bf16 v[88:91], a[176:177], v[144:145], v[88:91]// 000000006214: D3E10058 0D6321B0
	v_mfma_f32_16x16x16_bf16 v[88:91], a[178:179], v[146:147], v[88:91]// 00000000621C: D3E10058 0D6325B2
	buffer_load_dwordx4 a[48:51], v21, s[12:15], 0 offen       // 000000006224: E05C1000 80833015
	v_mfma_f32_16x16x16_bf16 v[88:91], a[180:181], v[148:149], v[88:91]// 00000000622C: D3E10058 0D6329B4
	v_mfma_f32_16x16x16_bf16 v[88:91], a[182:183], v[150:151], v[88:91]// 000000006234: D3E10058 0D632DB6
	v_mfma_f32_16x16x16_bf16 v[88:91], a[184:185], v[152:153], v[88:91]// 00000000623C: D3E10058 0D6331B8
	v_mfma_f32_16x16x16_bf16 v[88:91], a[186:187], v[154:155], v[88:91]// 000000006244: D3E10058 0D6335BA
	buffer_load_dwordx4 a[52:55], v21, s[12:15], 0 offen offset:1024// 00000000624C: E05C1400 80833415
	v_mfma_f32_16x16x16_bf16 v[88:91], a[188:189], v[156:157], v[88:91]// 000000006254: D3E10058 0D6339BC
	v_mfma_f32_16x16x16_bf16 v[88:91], a[190:191], v[158:159], v[88:91]// 00000000625C: D3E10058 0D633DBE
	v_mfma_f32_16x16x16_bf16 v[92:95], a[176:177], v[208:209], v[92:95]// 000000006264: D3E1005C 0D73A1B0
	v_mfma_f32_16x16x16_bf16 v[92:95], a[178:179], v[210:211], v[92:95]// 00000000626C: D3E1005C 0D73A5B2
	buffer_load_dwordx4 a[56:59], v21, s[12:15], 0 offen offset:2048// 000000006274: E05C1800 80833815
	v_mfma_f32_16x16x16_bf16 v[92:95], a[180:181], v[212:213], v[92:95]// 00000000627C: D3E1005C 0D73A9B4
	v_mfma_f32_16x16x16_bf16 v[92:95], a[182:183], v[214:215], v[92:95]// 000000006284: D3E1005C 0D73ADB6
	v_mfma_f32_16x16x16_bf16 v[92:95], a[184:185], v[216:217], v[92:95]// 00000000628C: D3E1005C 0D73B1B8
	v_mfma_f32_16x16x16_bf16 v[92:95], a[186:187], v[218:219], v[92:95]// 000000006294: D3E1005C 0D73B5BA
	buffer_load_dwordx4 a[60:63], v21, s[12:15], 0 offen offset:3072// 00000000629C: E05C1C00 80833C15
	v_mfma_f32_16x16x16_bf16 v[92:95], a[188:189], v[220:221], v[92:95]// 0000000062A4: D3E1005C 0D73B9BC
	v_mfma_f32_16x16x16_bf16 v[92:95], a[190:191], v[222:223], v[92:95]// 0000000062AC: D3E1005C 0D73BDBE
	s_mov_b64 exec, s[22:23]                                   // 0000000062B4: BEFE0116
	global_atomic_pk_add_f16 v40, v13, s[8:9]                  // 0000000062B8: DD388000 00080D28
	s_mov_b64 exec, s[38:39]                                   // 0000000062C0: BEFE0126
	s_waitcnt vmcnt(30)                                        // 0000000062C4: BF8C4F7E
	v_mfma_f32_16x16x16_bf16 v[80:83], a[192:193], v[160:161], v[80:83]// 0000000062C8: D3E10050 0D4341C0
	v_mfma_f32_16x16x16_bf16 v[80:83], a[194:195], v[162:163], v[80:83]// 0000000062D0: D3E10050 0D4345C2
	buffer_load_dwordx4 a[64:67], v22, s[12:15], 0 offen       // 0000000062D8: E05C1000 80834016
	v_mfma_f32_16x16x16_bf16 v[80:83], a[196:197], v[164:165], v[80:83]// 0000000062E0: D3E10050 0D4349C4
	s_add_u32 s60, 0x100, s80                                  // 0000000062E8: 803C50FF 00000100
	s_cmp_lt_u32 s60, s81                                      // 0000000062F0: BF0A513C
	s_cselect_b32 s56, s56, 0                                  // 0000000062F4: 85388038
	v_mfma_f32_16x16x16_bf16 v[80:83], a[198:199], v[166:167], v[80:83]// 0000000062F8: D3E10050 0D434DC6
	v_mfma_f32_16x16x16_bf16 v[80:83], a[200:201], v[168:169], v[80:83]// 000000006300: D3E10050 0D4351C8
	v_mfma_f32_16x16x16_bf16 v[80:83], a[202:203], v[170:171], v[80:83]// 000000006308: D3E10050 0D4355CA
	buffer_load_dwordx4 a[68:71], v22, s[12:15], 0 offen offset:1024// 000000006310: E05C1400 80834416
	v_mfma_f32_16x16x16_bf16 v[80:83], a[204:205], v[172:173], v[80:83]// 000000006318: D3E10050 0D4359CC
	s_cmp_ge_u32 s80, 0x100                                    // 000000006320: BF09FF50 00000100
	s_cselect_b32 s59, 0x100, s59                              // 000000006328: 853B3BFF 00000100
	v_mfma_f32_16x16x16_bf16 v[80:83], a[206:207], v[174:175], v[80:83]// 000000006330: D3E10050 0D435DCE
	v_mfma_f32_16x16x16_bf16 v[84:87], a[192:193], v[224:225], v[84:87]// 000000006338: D3E10054 0D53C1C0
	v_mfma_f32_16x16x16_bf16 v[84:87], a[194:195], v[226:227], v[84:87]// 000000006340: D3E10054 0D53C5C2
	buffer_load_dwordx4 a[72:75], v22, s[12:15], 0 offen offset:2048// 000000006348: E05C1800 80834816
	v_mfma_f32_16x16x16_bf16 v[84:87], a[196:197], v[228:229], v[84:87]// 000000006350: D3E10054 0D53C9C4
	s_add_u32 s16, s57, s16                                    // 000000006358: 80101039
	s_addc_u32 s17, 0, s17                                     // 00000000635C: 82111180
	v_mfma_f32_16x16x16_bf16 v[84:87], a[198:199], v[230:231], v[84:87]// 000000006360: D3E10054 0D53CDC6
	v_mfma_f32_16x16x16_bf16 v[84:87], a[200:201], v[232:233], v[84:87]// 000000006368: D3E10054 0D53D1C8
	v_mfma_f32_16x16x16_bf16 v[84:87], a[202:203], v[234:235], v[84:87]// 000000006370: D3E10054 0D53D5CA
	buffer_load_dwordx4 a[76:79], v22, s[12:15], 0 offen offset:3072// 000000006378: E05C1C00 80834C16
	v_mfma_f32_16x16x16_bf16 v[84:87], a[204:205], v[236:237], v[84:87]// 000000006380: D3E10054 0D53D9CC
	v_mfma_f32_16x16x16_bf16 v[84:87], a[206:207], v[238:239], v[84:87]// 000000006388: D3E10054 0D53DDCE
	s_mov_b64 exec, s[24:25]                                   // 000000006390: BEFE0118
	global_atomic_pk_add_f16 v42, v14, s[8:9]                  // 000000006394: DD388000 00080E2A
	s_mov_b64 exec, s[38:39]                                   // 00000000639C: BEFE0126
	v_mfma_f32_16x16x16_bf16 v[88:91], a[208:209], v[160:161], v[88:91]// 0000000063A0: D3E10058 0D6341D0
	v_mfma_f32_16x16x16_bf16 v[88:91], a[210:211], v[162:163], v[88:91]// 0000000063A8: D3E10058 0D6345D2
	buffer_load_dwordx4 a[80:83], v23, s[12:15], 0 offen       // 0000000063B0: E05C1000 80835017
	v_mfma_f32_16x16x16_bf16 v[88:91], a[212:213], v[164:165], v[88:91]// 0000000063B8: D3E10058 0D6349D4
	v_mfma_f32_16x16x16_bf16 v[88:91], a[214:215], v[166:167], v[88:91]// 0000000063C0: D3E10058 0D634DD6
	v_mfma_f32_16x16x16_bf16 v[88:91], a[216:217], v[168:169], v[88:91]// 0000000063C8: D3E10058 0D6351D8
	v_mfma_f32_16x16x16_bf16 v[88:91], a[218:219], v[170:171], v[88:91]// 0000000063D0: D3E10058 0D6355DA
	buffer_load_dwordx4 a[84:87], v23, s[12:15], 0 offen offset:1024// 0000000063D8: E05C1400 80835417
	v_mfma_f32_16x16x16_bf16 v[88:91], a[220:221], v[172:173], v[88:91]// 0000000063E0: D3E10058 0D6359DC
	v_mfma_f32_16x16x16_bf16 v[88:91], a[222:223], v[174:175], v[88:91]// 0000000063E8: D3E10058 0D635DDE
	v_mfma_f32_16x16x16_bf16 v[92:95], a[208:209], v[224:225], v[92:95]// 0000000063F0: D3E1005C 0D73C1D0
	v_mfma_f32_16x16x16_bf16 v[92:95], a[210:211], v[226:227], v[92:95]// 0000000063F8: D3E1005C 0D73C5D2
	buffer_load_dwordx4 a[88:91], v23, s[12:15], 0 offen offset:2048// 000000006400: E05C1800 80835817
	v_mfma_f32_16x16x16_bf16 v[92:95], a[212:213], v[228:229], v[92:95]// 000000006408: D3E1005C 0D73C9D4
	v_mfma_f32_16x16x16_bf16 v[92:95], a[214:215], v[230:231], v[92:95]// 000000006410: D3E1005C 0D73CDD6
	v_mfma_f32_16x16x16_bf16 v[92:95], a[216:217], v[232:233], v[92:95]// 000000006418: D3E1005C 0D73D1D8
	v_mfma_f32_16x16x16_bf16 v[92:95], a[218:219], v[234:235], v[92:95]// 000000006420: D3E1005C 0D73D5DA
	buffer_load_dwordx4 a[92:95], v23, s[12:15], 0 offen offset:3072// 000000006428: E05C1C00 80835C17
	v_mfma_f32_16x16x16_bf16 v[92:95], a[220:221], v[236:237], v[92:95]// 000000006430: D3E1005C 0D73D9DC
	v_mfma_f32_16x16x16_bf16 v[92:95], a[222:223], v[238:239], v[92:95]// 000000006438: D3E1005C 0D73DDDE
	s_mov_b64 exec, s[26:27]                                   // 000000006440: BEFE011A
	global_atomic_pk_add_f16 v44, v15, s[8:9]                  // 000000006444: DD388000 00080F2C
	s_mov_b64 exec, s[38:39]                                   // 00000000644C: BEFE0126
	s_waitcnt vmcnt(30)                                        // 000000006450: BF8C4F7E
	v_mfma_f32_16x16x16_bf16 v[80:83], a[224:225], v[176:177], v[80:83]// 000000006454: D3E10050 0D4361E0
	v_mfma_f32_16x16x16_bf16 v[80:83], a[226:227], v[178:179], v[80:83]// 00000000645C: D3E10050 0D4365E2
	buffer_load_dwordx4 a[96:99], v24, s[12:15], 0 offen       // 000000006464: E05C1000 80836018
	v_mfma_f32_16x16x16_bf16 v[80:83], a[228:229], v[180:181], v[80:83]// 00000000646C: D3E10050 0D4369E4
	v_mfma_f32_16x16x16_bf16 v[80:83], a[230:231], v[182:183], v[80:83]// 000000006474: D3E10050 0D436DE6
	v_mfma_f32_16x16x16_bf16 v[80:83], a[232:233], v[184:185], v[80:83]// 00000000647C: D3E10050 0D4371E8
	v_mfma_f32_16x16x16_bf16 v[80:83], a[234:235], v[186:187], v[80:83]// 000000006484: D3E10050 0D4375EA
	buffer_load_dwordx4 a[100:103], v24, s[12:15], 0 offen offset:1024// 00000000648C: E05C1400 80836418
	v_mfma_f32_16x16x16_bf16 v[80:83], a[236:237], v[188:189], v[80:83]// 000000006494: D3E10050 0D4379EC
	v_mfma_f32_16x16x16_bf16 v[80:83], a[238:239], v[190:191], v[80:83]// 00000000649C: D3E10050 0D437DEE
	v_mfma_f32_16x16x16_bf16 v[84:87], a[224:225], v[240:241], v[84:87]// 0000000064A4: D3E10054 0D53E1E0
	v_mfma_f32_16x16x16_bf16 v[84:87], a[226:227], v[242:243], v[84:87]// 0000000064AC: D3E10054 0D53E5E2
	buffer_load_dwordx4 a[104:107], v24, s[12:15], 0 offen offset:2048// 0000000064B4: E05C1800 80836818
	v_mfma_f32_16x16x16_bf16 v[84:87], a[228:229], v[244:245], v[84:87]// 0000000064BC: D3E10054 0D53E9E4
	v_mfma_f32_16x16x16_bf16 v[84:87], a[230:231], v[246:247], v[84:87]// 0000000064C4: D3E10054 0D53EDE6
	v_mfma_f32_16x16x16_bf16 v[84:87], a[232:233], v[248:249], v[84:87]// 0000000064CC: D3E10054 0D53F1E8
	v_mfma_f32_16x16x16_bf16 v[84:87], a[234:235], v[250:251], v[84:87]// 0000000064D4: D3E10054 0D53F5EA
	buffer_load_dwordx4 a[108:111], v24, s[12:15], 0 offen offset:3072// 0000000064DC: E05C1C00 80836C18
	v_mfma_f32_16x16x16_bf16 v[84:87], a[236:237], v[252:253], v[84:87]// 0000000064E4: D3E10054 0D53F9EC
	v_mfma_f32_16x16x16_bf16 v[84:87], a[238:239], v[254:255], v[84:87]// 0000000064EC: D3E10054 0D53FDEE
	s_mov_b64 exec, s[28:29]                                   // 0000000064F4: BEFE011C
	global_atomic_pk_add_f16 v46, v16, s[8:9]                  // 0000000064F8: DD388000 0008102E
	s_mov_b64 exec, s[38:39]                                   // 000000006500: BEFE0126
	v_mfma_f32_16x16x16_bf16 v[88:91], a[240:241], v[176:177], v[88:91]// 000000006504: D3E10058 0D6361F0
	v_mfma_f32_16x16x16_bf16 v[88:91], a[242:243], v[178:179], v[88:91]// 00000000650C: D3E10058 0D6365F2
	buffer_load_dwordx4 a[112:115], v25, s[12:15], 0 offen     // 000000006514: E05C1000 80837019
	v_mfma_f32_16x16x16_bf16 v[88:91], a[244:245], v[180:181], v[88:91]// 00000000651C: D3E10058 0D6369F4
	v_mfma_f32_16x16x16_bf16 v[88:91], a[246:247], v[182:183], v[88:91]// 000000006524: D3E10058 0D636DF6
	v_mfma_f32_16x16x16_bf16 v[88:91], a[248:249], v[184:185], v[88:91]// 00000000652C: D3E10058 0D6371F8
	v_mfma_f32_16x16x16_bf16 v[88:91], a[250:251], v[186:187], v[88:91]// 000000006534: D3E10058 0D6375FA
	buffer_load_dwordx4 a[116:119], v25, s[12:15], 0 offen offset:1024// 00000000653C: E05C1400 80837419
	v_mfma_f32_16x16x16_bf16 v[88:91], a[252:253], v[188:189], v[88:91]// 000000006544: D3E10058 0D6379FC
	v_mfma_f32_16x16x16_bf16 v[88:91], a[254:255], v[190:191], v[88:91]// 00000000654C: D3E10058 0D637DFE
	v_mfma_f32_16x16x16_bf16 v[92:95], a[240:241], v[240:241], v[92:95]// 000000006554: D3E1005C 0D73E1F0
	v_mfma_f32_16x16x16_bf16 v[92:95], a[242:243], v[242:243], v[92:95]// 00000000655C: D3E1005C 0D73E5F2
	buffer_load_dwordx4 a[120:123], v25, s[12:15], 0 offen offset:2048// 000000006564: E05C1800 80837819
	v_mfma_f32_16x16x16_bf16 v[92:95], a[244:245], v[244:245], v[92:95]// 00000000656C: D3E1005C 0D73E9F4
	v_mfma_f32_16x16x16_bf16 v[92:95], a[246:247], v[246:247], v[92:95]// 000000006574: D3E1005C 0D73EDF6
	v_mfma_f32_16x16x16_bf16 v[92:95], a[248:249], v[248:249], v[92:95]// 00000000657C: D3E1005C 0D73F1F8
	v_mfma_f32_16x16x16_bf16 v[92:95], a[250:251], v[250:251], v[92:95]// 000000006584: D3E1005C 0D73F5FA
	buffer_load_dwordx4 a[124:127], v25, s[12:15], 0 offen offset:3072// 00000000658C: E05C1C00 80837C19
	v_mfma_f32_16x16x16_bf16 v[92:95], a[252:253], v[252:253], v[92:95]// 000000006594: D3E1005C 0D73F9FC
	s_add_u32 s12, s56, s12                                    // 00000000659C: 800C0C38
	s_addc_u32 s13, 0, s13                                     // 0000000065A0: 820D0D80
	v_mfma_f32_16x16x16_bf16 v[92:95], a[254:255], v[254:255], v[92:95]// 0000000065A4: D3E1005C 0D73FDFE
	s_mov_b64 exec, s[30:31]                                   // 0000000065AC: BEFE011E
	global_atomic_pk_add_f16 v48, v17, s[8:9]                  // 0000000065B0: DD388000 00081130
	s_mov_b64 exec, s[38:39]                                   // 0000000065B8: BEFE0126
	s_add_u32 s8, s59, s8                                      // 0000000065BC: 8008083B
	s_addc_u32 s9, 0, s9                                       // 0000000065C0: 82090980
	v_mul_f32_e32 v80, v8, v80                                 // 0000000065C4: 0AA0A108
	v_mul_f32_e32 v81, v8, v81                                 // 0000000065C8: 0AA2A308
	v_mul_f32_e32 v82, v8, v82                                 // 0000000065CC: 0AA4A508
	v_mul_f32_e32 v83, v8, v83                                 // 0000000065D0: 0AA6A708
	v_mul_f32_e32 v84, v9, v84                                 // 0000000065D4: 0AA8A909
	v_mul_f32_e32 v85, v9, v85                                 // 0000000065D8: 0AAAAB09
	v_mul_f32_e32 v86, v9, v86                                 // 0000000065DC: 0AACAD09
	v_mul_f32_e32 v87, v9, v87                                 // 0000000065E0: 0AAEAF09
	v_mul_f32_e32 v88, v8, v88                                 // 0000000065E4: 0AB0B108
	v_mul_f32_e32 v89, v8, v89                                 // 0000000065E8: 0AB2B308
	v_mul_f32_e32 v90, v8, v90                                 // 0000000065EC: 0AB4B508
	v_mul_f32_e32 v91, v8, v91                                 // 0000000065F0: 0AB6B708
	v_mul_f32_e32 v92, v9, v92                                 // 0000000065F4: 0AB8B909
	v_mul_f32_e32 v93, v9, v93                                 // 0000000065F8: 0ABABB09
	v_mul_f32_e32 v94, v9, v94                                 // 0000000065FC: 0ABCBD09
	v_mul_f32_e32 v95, v9, v95                                 // 000000006600: 0ABEBF09
	v_cvt_pkrtz_f16_f32 v80, v80, v81                          // 000000006604: D2960050 0002A350
	v_cvt_pkrtz_f16_f32 v81, v82, v83                          // 00000000660C: D2960051 0002A752
	v_cvt_pkrtz_f16_f32 v82, v84, v85                          // 000000006614: D2960052 0002AB54
	v_cvt_pkrtz_f16_f32 v83, v86, v87                          // 00000000661C: D2960053 0002AF56
	v_cvt_pkrtz_f16_f32 v84, v88, v89                          // 000000006624: D2960054 0002B358
	v_cvt_pkrtz_f16_f32 v85, v90, v91                          // 00000000662C: D2960055 0002B75A
	v_cvt_pkrtz_f16_f32 v86, v92, v93                          // 000000006634: D2960056 0002BB5C
	v_cvt_pkrtz_f16_f32 v87, v94, v95                          // 00000000663C: D2960057 0002BF5E
	s_addk_i32 s80, 0x80                                       // 000000006644: B7500080
	s_cmp_lt_i32 s80, s81                                      // 000000006648: BF045150
	s_cbranch_scc0 label_0E15                                  // 00000000664C: BF840001
	s_branch label_0AB6                                        // 000000006650: BF82FCA1

0000000000006654 <label_0E15>:
	s_nop 0                                                    // 000000006654: BF800000
	s_nop 0                                                    // 000000006658: BF800000
	s_branch label_1A1E                                        // 00000000665C: BF820C06

0000000000006660 <label_0E18>:
	s_waitcnt vmcnt(24) lgkmcnt(0)                             // 000000006660: BF8C4078
	s_barrier                                                  // 000000006664: BF8A0000
	v_mfma_f32_16x16x16_bf16 v[128:131], a[0:1], v[64:65], v[128:131]// 000000006668: D3E10080 0E028100
	buffer_load_dwordx4 a[128:131], v26, s[20:23], 0 offen     // 000000006670: E05C1000 8085801A
	v_mfma_f32_16x16x16_bf16 v[128:131], a[2:3], v[66:67], v[128:131]// 000000006678: D3E10080 0E028502
	v_mfma_f32_16x16x16_bf16 v[128:131], a[4:5], v[68:69], v[128:131]// 000000006680: D3E10080 0E028904
	buffer_load_dword v10, s[16:19], 0 offen lds               // 000000006688: E0511000 8004000A
	s_add_u32 m0, 0x100, s36                                   // 000000006690: 807C24FF 00000100
	v_mfma_f32_16x16x16_bf16 v[128:131], a[6:7], v[70:71], v[128:131]// 000000006698: D3E10080 0E028D06
	v_mfma_f32_16x16x16_bf16 v[128:131], a[8:9], v[72:73], v[128:131]// 0000000066A0: D3E10080 0E029108
	buffer_load_dwordx4 a[132:135], v26, s[20:23], 0 offen offset:1024// 0000000066A8: E05C1400 8085841A
	v_mfma_f32_16x16x16_bf16 v[128:131], a[10:11], v[74:75], v[128:131]// 0000000066B0: D3E10080 0E02950A
	v_mfma_f32_16x16x16_bf16 v[128:131], a[12:13], v[76:77], v[128:131]// 0000000066B8: D3E10080 0E02990C
	buffer_load_dword v11, s[16:19], 0 offen lds               // 0000000066C0: E0511000 8004000B
	s_add_u32 m0, 0x200, s36                                   // 0000000066C8: 807C24FF 00000200
	v_mfma_f32_16x16x16_bf16 v[128:131], a[14:15], v[78:79], v[128:131]// 0000000066D0: D3E10080 0E029D0E
	v_mfma_f32_16x16x16_bf16 v[132:135], a[0:1], v[80:81], v[132:135]// 0000000066D8: D3E10084 0E12A100
	buffer_load_dwordx4 a[136:139], v26, s[20:23], 0 offen offset:2048// 0000000066E0: E05C1800 8085881A
	v_mfma_f32_16x16x16_bf16 v[132:135], a[2:3], v[82:83], v[132:135]// 0000000066E8: D3E10084 0E12A502
	v_mfma_f32_16x16x16_bf16 v[132:135], a[4:5], v[84:85], v[132:135]// 0000000066F0: D3E10084 0E12A904
	buffer_load_dword v12, s[16:19], 0 offen lds               // 0000000066F8: E0511000 8004000C
	s_add_u32 m0, 0x300, s36                                   // 000000006700: 807C24FF 00000300
	v_mfma_f32_16x16x16_bf16 v[132:135], a[6:7], v[86:87], v[132:135]// 000000006708: D3E10084 0E12AD06
	v_mfma_f32_16x16x16_bf16 v[132:135], a[8:9], v[88:89], v[132:135]// 000000006710: D3E10084 0E12B108
	buffer_load_dwordx4 a[140:143], v26, s[20:23], 0 offen offset:3072// 000000006718: E05C1C00 80858C1A
	v_mfma_f32_16x16x16_bf16 v[132:135], a[10:11], v[90:91], v[132:135]// 000000006720: D3E10084 0E12B50A
	v_mfma_f32_16x16x16_bf16 v[132:135], a[12:13], v[92:93], v[132:135]// 000000006728: D3E10084 0E12B90C
	buffer_load_dword v13, s[16:19], 0 offen lds               // 000000006730: E0511000 8004000D
	s_add_u32 m0, 0x400, s36                                   // 000000006738: 807C24FF 00000400
	v_mfma_f32_16x16x16_bf16 v[132:135], a[14:15], v[94:95], v[132:135]// 000000006740: D3E10084 0E12BD0E
	v_mfma_f32_16x16x16_bf16 v[136:139], a[16:17], v[64:65], v[136:139]// 000000006748: D3E10088 0E228110
	buffer_load_dwordx4 a[144:147], v27, s[20:23], 0 offen     // 000000006750: E05C1000 8085901B
	v_mfma_f32_16x16x16_bf16 v[136:139], a[18:19], v[66:67], v[136:139]// 000000006758: D3E10088 0E228512
	v_mfma_f32_16x16x16_bf16 v[136:139], a[20:21], v[68:69], v[136:139]// 000000006760: D3E10088 0E228914
	buffer_load_dword v14, s[16:19], 0 offen lds               // 000000006768: E0511000 8004000E
	s_add_u32 m0, 0x500, s36                                   // 000000006770: 807C24FF 00000500
	v_mfma_f32_16x16x16_bf16 v[136:139], a[22:23], v[70:71], v[136:139]// 000000006778: D3E10088 0E228D16
	v_mfma_f32_16x16x16_bf16 v[136:139], a[24:25], v[72:73], v[136:139]// 000000006780: D3E10088 0E229118
	buffer_load_dwordx4 a[148:151], v27, s[20:23], 0 offen offset:1024// 000000006788: E05C1400 8085941B
	v_mfma_f32_16x16x16_bf16 v[136:139], a[26:27], v[74:75], v[136:139]// 000000006790: D3E10088 0E22951A
	v_mfma_f32_16x16x16_bf16 v[136:139], a[28:29], v[76:77], v[136:139]// 000000006798: D3E10088 0E22991C
	buffer_load_dword v15, s[16:19], 0 offen lds               // 0000000067A0: E0511000 8004000F
	s_add_u32 m0, 0x600, s36                                   // 0000000067A8: 807C24FF 00000600
	v_mfma_f32_16x16x16_bf16 v[136:139], a[30:31], v[78:79], v[136:139]// 0000000067B0: D3E10088 0E229D1E
	v_mfma_f32_16x16x16_bf16 v[140:143], a[16:17], v[80:81], v[140:143]// 0000000067B8: D3E1008C 0E32A110
	buffer_load_dwordx4 a[152:155], v27, s[20:23], 0 offen offset:2048// 0000000067C0: E05C1800 8085981B
	v_mfma_f32_16x16x16_bf16 v[140:143], a[18:19], v[82:83], v[140:143]// 0000000067C8: D3E1008C 0E32A512
	v_mfma_f32_16x16x16_bf16 v[140:143], a[20:21], v[84:85], v[140:143]// 0000000067D0: D3E1008C 0E32A914
	buffer_load_dword v16, s[16:19], 0 offen lds               // 0000000067D8: E0511000 80040010
	s_add_u32 m0, 0x700, s36                                   // 0000000067E0: 807C24FF 00000700
	v_mfma_f32_16x16x16_bf16 v[140:143], a[22:23], v[86:87], v[140:143]// 0000000067E8: D3E1008C 0E32AD16
	v_mfma_f32_16x16x16_bf16 v[140:143], a[24:25], v[88:89], v[140:143]// 0000000067F0: D3E1008C 0E32B118
	buffer_load_dwordx4 a[156:159], v27, s[20:23], 0 offen offset:3072// 0000000067F8: E05C1C00 80859C1B
	v_mfma_f32_16x16x16_bf16 v[140:143], a[26:27], v[90:91], v[140:143]// 000000006800: D3E1008C 0E32B51A
	v_mfma_f32_16x16x16_bf16 v[140:143], a[28:29], v[92:93], v[140:143]// 000000006808: D3E1008C 0E32B91C
	buffer_load_dword v17, s[16:19], 0 offen lds               // 000000006810: E0511000 80040011
	s_add_u32 m0, 0, s37                                       // 000000006818: 807C2580
	v_mfma_f32_16x16x16_bf16 v[140:143], a[30:31], v[94:95], v[140:143]// 00000000681C: D3E1008C 0E32BD1E
	s_waitcnt vmcnt(32)                                        // 000000006824: BF8C8F70
	v_mfma_f32_16x16x16_bf16 v[144:147], a[32:33], v[64:65], v[144:147]// 000000006828: D3E10090 0E428120
	buffer_load_dwordx4 a[160:163], v28, s[20:23], 0 offen     // 000000006830: E05C1000 8085A01C
	v_mfma_f32_16x16x16_bf16 v[144:147], a[34:35], v[66:67], v[144:147]// 000000006838: D3E10090 0E428522
	v_mfma_f32_16x16x16_bf16 v[144:147], a[36:37], v[68:69], v[144:147]// 000000006840: D3E10090 0E428924
	ds_read_b128 v[96:99], v2 offset:8320                      // 000000006848: D9FE2080 60000002
	v_mfma_f32_16x16x16_bf16 v[144:147], a[38:39], v[70:71], v[144:147]// 000000006850: D3E10090 0E428D26
	v_mfma_f32_16x16x16_bf16 v[144:147], a[40:41], v[72:73], v[144:147]// 000000006858: D3E10090 0E429128
	buffer_load_dwordx4 a[164:167], v28, s[20:23], 0 offen offset:1024// 000000006860: E05C1400 8085A41C
	v_mfma_f32_16x16x16_bf16 v[144:147], a[42:43], v[74:75], v[144:147]// 000000006868: D3E10090 0E42952A
	v_mfma_f32_16x16x16_bf16 v[144:147], a[44:45], v[76:77], v[144:147]// 000000006870: D3E10090 0E42992C
	ds_read_b128 v[100:103], v2 offset:8384                    // 000000006878: D9FE20C0 64000002
	v_mfma_f32_16x16x16_bf16 v[144:147], a[46:47], v[78:79], v[144:147]// 000000006880: D3E10090 0E429D2E
	v_mfma_f32_16x16x16_bf16 v[148:151], a[32:33], v[80:81], v[148:151]// 000000006888: D3E10094 0E52A120
	buffer_load_dwordx4 a[168:171], v28, s[20:23], 0 offen offset:2048// 000000006890: E05C1800 8085A81C
	v_mfma_f32_16x16x16_bf16 v[148:151], a[34:35], v[82:83], v[148:151]// 000000006898: D3E10094 0E52A522
	v_mfma_f32_16x16x16_bf16 v[148:151], a[36:37], v[84:85], v[148:151]// 0000000068A0: D3E10094 0E52A924
	ds_read_b128 v[104:107], v2 offset:8448                    // 0000000068A8: D9FE2100 68000002
	v_mfma_f32_16x16x16_bf16 v[148:151], a[38:39], v[86:87], v[148:151]// 0000000068B0: D3E10094 0E52AD26
	v_mfma_f32_16x16x16_bf16 v[148:151], a[40:41], v[88:89], v[148:151]// 0000000068B8: D3E10094 0E52B128
	buffer_load_dwordx4 a[172:175], v28, s[20:23], 0 offen offset:3072// 0000000068C0: E05C1C00 8085AC1C
	v_mfma_f32_16x16x16_bf16 v[148:151], a[42:43], v[90:91], v[148:151]// 0000000068C8: D3E10094 0E52B52A
	v_mfma_f32_16x16x16_bf16 v[148:151], a[44:45], v[92:93], v[148:151]// 0000000068D0: D3E10094 0E52B92C
	ds_read_b128 v[108:111], v2 offset:8512                    // 0000000068D8: D9FE2140 6C000002
	v_mfma_f32_16x16x16_bf16 v[148:151], a[46:47], v[94:95], v[148:151]// 0000000068E0: D3E10094 0E52BD2E
	v_mfma_f32_16x16x16_bf16 v[152:155], a[48:49], v[64:65], v[152:155]// 0000000068E8: D3E10098 0E628130
	buffer_load_dwordx4 a[176:179], v29, s[20:23], 0 offen     // 0000000068F0: E05C1000 8085B01D
	v_mfma_f32_16x16x16_bf16 v[152:155], a[50:51], v[66:67], v[152:155]// 0000000068F8: D3E10098 0E628532
	v_mfma_f32_16x16x16_bf16 v[152:155], a[52:53], v[68:69], v[152:155]// 000000006900: D3E10098 0E628934
	ds_read_b128 v[112:115], v2 offset:9344                    // 000000006908: D9FE2480 70000002
	v_mfma_f32_16x16x16_bf16 v[152:155], a[54:55], v[70:71], v[152:155]// 000000006910: D3E10098 0E628D36
	v_mfma_f32_16x16x16_bf16 v[152:155], a[56:57], v[72:73], v[152:155]// 000000006918: D3E10098 0E629138
	buffer_load_dwordx4 a[180:183], v29, s[20:23], 0 offen offset:1024// 000000006920: E05C1400 8085B41D
	v_mfma_f32_16x16x16_bf16 v[152:155], a[58:59], v[74:75], v[152:155]// 000000006928: D3E10098 0E62953A
	v_mfma_f32_16x16x16_bf16 v[152:155], a[60:61], v[76:77], v[152:155]// 000000006930: D3E10098 0E62993C
	ds_read_b128 v[116:119], v2 offset:9408                    // 000000006938: D9FE24C0 74000002
	v_mfma_f32_16x16x16_bf16 v[152:155], a[62:63], v[78:79], v[152:155]// 000000006940: D3E10098 0E629D3E
	v_mfma_f32_16x16x16_bf16 v[156:159], a[48:49], v[80:81], v[156:159]// 000000006948: D3E1009C 0E72A130
	buffer_load_dwordx4 a[184:187], v29, s[20:23], 0 offen offset:2048// 000000006950: E05C1800 8085B81D
	v_mfma_f32_16x16x16_bf16 v[156:159], a[50:51], v[82:83], v[156:159]// 000000006958: D3E1009C 0E72A532
	v_mfma_f32_16x16x16_bf16 v[156:159], a[52:53], v[84:85], v[156:159]// 000000006960: D3E1009C 0E72A934
	ds_read_b128 v[120:123], v2 offset:9472                    // 000000006968: D9FE2500 78000002
	v_mfma_f32_16x16x16_bf16 v[156:159], a[54:55], v[86:87], v[156:159]// 000000006970: D3E1009C 0E72AD36
	v_mfma_f32_16x16x16_bf16 v[156:159], a[56:57], v[88:89], v[156:159]// 000000006978: D3E1009C 0E72B138
	buffer_load_dwordx4 a[188:191], v29, s[20:23], 0 offen offset:3072// 000000006980: E05C1C00 8085BC1D
	v_mfma_f32_16x16x16_bf16 v[156:159], a[58:59], v[90:91], v[156:159]// 000000006988: D3E1009C 0E72B53A
	v_mfma_f32_16x16x16_bf16 v[156:159], a[60:61], v[92:93], v[156:159]// 000000006990: D3E1009C 0E72B93C
	ds_read_b128 v[124:127], v2 offset:9536                    // 000000006998: D9FE2540 7C000002
	v_mfma_f32_16x16x16_bf16 v[156:159], a[62:63], v[94:95], v[156:159]// 0000000069A0: D3E1009C 0E72BD3E
	s_waitcnt vmcnt(32)                                        // 0000000069A8: BF8C8F70
	v_mfma_f32_16x16x16_bf16 v[160:163], a[64:65], v[64:65], v[160:163]// 0000000069AC: D3E100A0 0E828140
	buffer_load_dwordx4 a[192:195], v30, s[20:23], 0 offen     // 0000000069B4: E05C1000 8085C01E
	v_mfma_f32_16x16x16_bf16 v[160:163], a[66:67], v[66:67], v[160:163]// 0000000069BC: D3E100A0 0E828542
	v_mfma_f32_16x16x16_bf16 v[160:163], a[68:69], v[68:69], v[160:163]// 0000000069C4: D3E100A0 0E828944
	s_add_u32 s60, 0x180, s80                                  // 0000000069CC: 803C50FF 00000180
	s_cmp_lt_u32 s60, s81                                      // 0000000069D4: BF0A513C
	s_cselect_b32 s57, s57, 0                                  // 0000000069D8: 85398039
	v_mfma_f32_16x16x16_bf16 v[160:163], a[70:71], v[70:71], v[160:163]// 0000000069DC: D3E100A0 0E828D46
	v_mfma_f32_16x16x16_bf16 v[160:163], a[72:73], v[72:73], v[160:163]// 0000000069E4: D3E100A0 0E829148
	buffer_load_dwordx4 a[196:199], v30, s[20:23], 0 offen offset:1024// 0000000069EC: E05C1400 8085C41E
	v_mfma_f32_16x16x16_bf16 v[160:163], a[74:75], v[74:75], v[160:163]// 0000000069F4: D3E100A0 0E82954A
	v_mfma_f32_16x16x16_bf16 v[160:163], a[76:77], v[76:77], v[160:163]// 0000000069FC: D3E100A0 0E82994C
	s_add_u32 s60, 0x100, s80                                  // 000000006A04: 803C50FF 00000100
	s_cmp_lt_u32 s60, s81                                      // 000000006A0C: BF0A513C
	s_cselect_b32 s58, s58, 0                                  // 000000006A10: 853A803A
	v_mfma_f32_16x16x16_bf16 v[160:163], a[78:79], v[78:79], v[160:163]// 000000006A14: D3E100A0 0E829D4E
	v_mfma_f32_16x16x16_bf16 v[164:167], a[64:65], v[80:81], v[164:167]// 000000006A1C: D3E100A4 0E92A140
	buffer_load_dwordx4 a[200:203], v30, s[20:23], 0 offen offset:2048// 000000006A24: E05C1800 8085C81E
	v_mfma_f32_16x16x16_bf16 v[164:167], a[66:67], v[82:83], v[164:167]// 000000006A2C: D3E100A4 0E92A542
	v_mfma_f32_16x16x16_bf16 v[164:167], a[68:69], v[84:85], v[164:167]// 000000006A34: D3E100A4 0E92A944
	s_add_u32 s16, s57, s16                                    // 000000006A3C: 80101039
	s_addc_u32 s17, 0, s17                                     // 000000006A40: 82111180
	v_mfma_f32_16x16x16_bf16 v[164:167], a[70:71], v[86:87], v[164:167]// 000000006A44: D3E100A4 0E92AD46
	v_mfma_f32_16x16x16_bf16 v[164:167], a[72:73], v[88:89], v[164:167]// 000000006A4C: D3E100A4 0E92B148
	buffer_load_dwordx4 a[204:207], v30, s[20:23], 0 offen offset:3072// 000000006A54: E05C1C00 8085CC1E
	v_mfma_f32_16x16x16_bf16 v[164:167], a[74:75], v[90:91], v[164:167]// 000000006A5C: D3E100A4 0E92B54A
	v_mfma_f32_16x16x16_bf16 v[164:167], a[76:77], v[92:93], v[164:167]// 000000006A64: D3E100A4 0E92B94C
	v_mfma_f32_16x16x16_bf16 v[164:167], a[78:79], v[94:95], v[164:167]// 000000006A6C: D3E100A4 0E92BD4E
	v_mfma_f32_16x16x16_bf16 v[168:171], a[80:81], v[64:65], v[168:171]// 000000006A74: D3E100A8 0EA28150
	buffer_load_dwordx4 a[208:211], v31, s[20:23], 0 offen     // 000000006A7C: E05C1000 8085D01F
	v_mfma_f32_16x16x16_bf16 v[168:171], a[82:83], v[66:67], v[168:171]// 000000006A84: D3E100A8 0EA28552
	v_mfma_f32_16x16x16_bf16 v[168:171], a[84:85], v[68:69], v[168:171]// 000000006A8C: D3E100A8 0EA28954
	v_mfma_f32_16x16x16_bf16 v[168:171], a[86:87], v[70:71], v[168:171]// 000000006A94: D3E100A8 0EA28D56
	v_mfma_f32_16x16x16_bf16 v[168:171], a[88:89], v[72:73], v[168:171]// 000000006A9C: D3E100A8 0EA29158
	buffer_load_dwordx4 a[212:215], v31, s[20:23], 0 offen offset:1024// 000000006AA4: E05C1400 8085D41F
	v_mfma_f32_16x16x16_bf16 v[168:171], a[90:91], v[74:75], v[168:171]// 000000006AAC: D3E100A8 0EA2955A
	v_mfma_f32_16x16x16_bf16 v[168:171], a[92:93], v[76:77], v[168:171]// 000000006AB4: D3E100A8 0EA2995C
	v_mfma_f32_16x16x16_bf16 v[168:171], a[94:95], v[78:79], v[168:171]// 000000006ABC: D3E100A8 0EA29D5E
	v_mfma_f32_16x16x16_bf16 v[172:175], a[80:81], v[80:81], v[172:175]// 000000006AC4: D3E100AC 0EB2A150
	buffer_load_dwordx4 a[216:219], v31, s[20:23], 0 offen offset:2048// 000000006ACC: E05C1800 8085D81F
	v_mfma_f32_16x16x16_bf16 v[172:175], a[82:83], v[82:83], v[172:175]// 000000006AD4: D3E100AC 0EB2A552
	v_mfma_f32_16x16x16_bf16 v[172:175], a[84:85], v[84:85], v[172:175]// 000000006ADC: D3E100AC 0EB2A954
	v_mfma_f32_16x16x16_bf16 v[172:175], a[86:87], v[86:87], v[172:175]// 000000006AE4: D3E100AC 0EB2AD56
	v_mfma_f32_16x16x16_bf16 v[172:175], a[88:89], v[88:89], v[172:175]// 000000006AEC: D3E100AC 0EB2B158
	buffer_load_dwordx4 a[220:223], v31, s[20:23], 0 offen offset:3072// 000000006AF4: E05C1C00 8085DC1F
	v_mfma_f32_16x16x16_bf16 v[172:175], a[90:91], v[90:91], v[172:175]// 000000006AFC: D3E100AC 0EB2B55A
	v_mfma_f32_16x16x16_bf16 v[172:175], a[92:93], v[92:93], v[172:175]// 000000006B04: D3E100AC 0EB2B95C
	v_mfma_f32_16x16x16_bf16 v[172:175], a[94:95], v[94:95], v[172:175]// 000000006B0C: D3E100AC 0EB2BD5E
	s_waitcnt vmcnt(32)                                        // 000000006B14: BF8C8F70
	v_mfma_f32_16x16x16_bf16 v[176:179], a[96:97], v[64:65], v[176:179]// 000000006B18: D3E100B0 0EC28160
	buffer_load_dwordx4 a[224:227], v32, s[20:23], 0 offen     // 000000006B20: E05C1000 8085E020
	v_mfma_f32_16x16x16_bf16 v[176:179], a[98:99], v[66:67], v[176:179]// 000000006B28: D3E100B0 0EC28562
	v_mfma_f32_16x16x16_bf16 v[176:179], a[100:101], v[68:69], v[176:179]// 000000006B30: D3E100B0 0EC28964
	v_mfma_f32_16x16x16_bf16 v[176:179], a[102:103], v[70:71], v[176:179]// 000000006B38: D3E100B0 0EC28D66
	v_mfma_f32_16x16x16_bf16 v[176:179], a[104:105], v[72:73], v[176:179]// 000000006B40: D3E100B0 0EC29168
	buffer_load_dwordx4 a[228:231], v32, s[20:23], 0 offen offset:1024// 000000006B48: E05C1400 8085E420
	v_mfma_f32_16x16x16_bf16 v[176:179], a[106:107], v[74:75], v[176:179]// 000000006B50: D3E100B0 0EC2956A
	v_mfma_f32_16x16x16_bf16 v[176:179], a[108:109], v[76:77], v[176:179]// 000000006B58: D3E100B0 0EC2996C
	v_mfma_f32_16x16x16_bf16 v[176:179], a[110:111], v[78:79], v[176:179]// 000000006B60: D3E100B0 0EC29D6E
	v_mfma_f32_16x16x16_bf16 v[180:183], a[96:97], v[80:81], v[180:183]// 000000006B68: D3E100B4 0ED2A160
	buffer_load_dwordx4 a[232:235], v32, s[20:23], 0 offen offset:2048// 000000006B70: E05C1800 8085E820
	v_mfma_f32_16x16x16_bf16 v[180:183], a[98:99], v[82:83], v[180:183]// 000000006B78: D3E100B4 0ED2A562
	v_mfma_f32_16x16x16_bf16 v[180:183], a[100:101], v[84:85], v[180:183]// 000000006B80: D3E100B4 0ED2A964
	v_mfma_f32_16x16x16_bf16 v[180:183], a[102:103], v[86:87], v[180:183]// 000000006B88: D3E100B4 0ED2AD66
	v_mfma_f32_16x16x16_bf16 v[180:183], a[104:105], v[88:89], v[180:183]// 000000006B90: D3E100B4 0ED2B168
	buffer_load_dwordx4 a[236:239], v32, s[20:23], 0 offen offset:3072// 000000006B98: E05C1C00 8085EC20
	v_mfma_f32_16x16x16_bf16 v[180:183], a[106:107], v[90:91], v[180:183]// 000000006BA0: D3E100B4 0ED2B56A
	v_mfma_f32_16x16x16_bf16 v[180:183], a[108:109], v[92:93], v[180:183]// 000000006BA8: D3E100B4 0ED2B96C
	v_mfma_f32_16x16x16_bf16 v[180:183], a[110:111], v[94:95], v[180:183]// 000000006BB0: D3E100B4 0ED2BD6E
	v_mfma_f32_16x16x16_bf16 v[184:187], a[112:113], v[64:65], v[184:187]// 000000006BB8: D3E100B8 0EE28170
	buffer_load_dwordx4 a[240:243], v33, s[20:23], 0 offen     // 000000006BC0: E05C1000 8085F021
	v_mfma_f32_16x16x16_bf16 v[184:187], a[114:115], v[66:67], v[184:187]// 000000006BC8: D3E100B8 0EE28572
	v_mfma_f32_16x16x16_bf16 v[184:187], a[116:117], v[68:69], v[184:187]// 000000006BD0: D3E100B8 0EE28974
	v_mfma_f32_16x16x16_bf16 v[184:187], a[118:119], v[70:71], v[184:187]// 000000006BD8: D3E100B8 0EE28D76
	v_mfma_f32_16x16x16_bf16 v[184:187], a[120:121], v[72:73], v[184:187]// 000000006BE0: D3E100B8 0EE29178
	buffer_load_dwordx4 a[244:247], v33, s[20:23], 0 offen offset:1024// 000000006BE8: E05C1400 8085F421
	v_mfma_f32_16x16x16_bf16 v[184:187], a[122:123], v[74:75], v[184:187]// 000000006BF0: D3E100B8 0EE2957A
	v_mfma_f32_16x16x16_bf16 v[184:187], a[124:125], v[76:77], v[184:187]// 000000006BF8: D3E100B8 0EE2997C
	v_mfma_f32_16x16x16_bf16 v[184:187], a[126:127], v[78:79], v[184:187]// 000000006C00: D3E100B8 0EE29D7E
	v_mfma_f32_16x16x16_bf16 v[188:191], a[112:113], v[80:81], v[188:191]// 000000006C08: D3E100BC 0EF2A170
	buffer_load_dwordx4 a[248:251], v33, s[20:23], 0 offen offset:2048// 000000006C10: E05C1800 8085F821
	v_mfma_f32_16x16x16_bf16 v[188:191], a[114:115], v[82:83], v[188:191]// 000000006C18: D3E100BC 0EF2A572
	v_mfma_f32_16x16x16_bf16 v[188:191], a[116:117], v[84:85], v[188:191]// 000000006C20: D3E100BC 0EF2A974
	v_mfma_f32_16x16x16_bf16 v[188:191], a[118:119], v[86:87], v[188:191]// 000000006C28: D3E100BC 0EF2AD76
	v_mfma_f32_16x16x16_bf16 v[188:191], a[120:121], v[88:89], v[188:191]// 000000006C30: D3E100BC 0EF2B178
	buffer_load_dwordx4 a[252:255], v33, s[20:23], 0 offen offset:3072// 000000006C38: E05C1C00 8085FC21
	v_mfma_f32_16x16x16_bf16 v[188:191], a[122:123], v[90:91], v[188:191]// 000000006C40: D3E100BC 0EF2B57A
	v_mfma_f32_16x16x16_bf16 v[188:191], a[124:125], v[92:93], v[188:191]// 000000006C48: D3E100BC 0EF2B97C
	s_add_u32 s20, s58, s20                                    // 000000006C50: 8014143A
	s_addc_u32 s21, 0, s21                                     // 000000006C54: 82151580
	v_mfma_f32_16x16x16_bf16 v[188:191], a[126:127], v[94:95], v[188:191]// 000000006C58: D3E100BC 0EF2BD7E
	s_addk_i32 s80, 0x80                                       // 000000006C60: B7500080
	s_cmp_lt_i32 s80, s81                                      // 000000006C64: BF045150
	s_cbranch_scc0 label_111F                                  // 000000006C68: BF840184
	s_waitcnt vmcnt(24) lgkmcnt(0)                             // 000000006C6C: BF8C4078
	s_barrier                                                  // 000000006C70: BF8A0000
	v_mfma_f32_16x16x16_bf16 v[128:131], a[128:129], v[96:97], v[128:131]// 000000006C74: D3E10080 0E02C180
	buffer_load_dwordx4 a[0:3], v26, s[20:23], 0 offen         // 000000006C7C: E05C1000 8085001A
	v_mfma_f32_16x16x16_bf16 v[128:131], a[130:131], v[98:99], v[128:131]// 000000006C84: D3E10080 0E02C582
	v_mfma_f32_16x16x16_bf16 v[128:131], a[132:133], v[100:101], v[128:131]// 000000006C8C: D3E10080 0E02C984
	buffer_load_dword v10, s[16:19], 0 offen lds               // 000000006C94: E0511000 8004000A
	s_add_u32 m0, 0x100, s37                                   // 000000006C9C: 807C25FF 00000100
	v_mfma_f32_16x16x16_bf16 v[128:131], a[134:135], v[102:103], v[128:131]// 000000006CA4: D3E10080 0E02CD86
	v_mfma_f32_16x16x16_bf16 v[128:131], a[136:137], v[104:105], v[128:131]// 000000006CAC: D3E10080 0E02D188
	buffer_load_dwordx4 a[4:7], v26, s[20:23], 0 offen offset:1024// 000000006CB4: E05C1400 8085041A
	v_mfma_f32_16x16x16_bf16 v[128:131], a[138:139], v[106:107], v[128:131]// 000000006CBC: D3E10080 0E02D58A
	v_mfma_f32_16x16x16_bf16 v[128:131], a[140:141], v[108:109], v[128:131]// 000000006CC4: D3E10080 0E02D98C
	buffer_load_dword v11, s[16:19], 0 offen lds               // 000000006CCC: E0511000 8004000B
	s_add_u32 m0, 0x200, s37                                   // 000000006CD4: 807C25FF 00000200
	v_mfma_f32_16x16x16_bf16 v[128:131], a[142:143], v[110:111], v[128:131]// 000000006CDC: D3E10080 0E02DD8E
	v_mfma_f32_16x16x16_bf16 v[132:135], a[128:129], v[112:113], v[132:135]// 000000006CE4: D3E10084 0E12E180
	buffer_load_dwordx4 a[8:11], v26, s[20:23], 0 offen offset:2048// 000000006CEC: E05C1800 8085081A
	v_mfma_f32_16x16x16_bf16 v[132:135], a[130:131], v[114:115], v[132:135]// 000000006CF4: D3E10084 0E12E582
	v_mfma_f32_16x16x16_bf16 v[132:135], a[132:133], v[116:117], v[132:135]// 000000006CFC: D3E10084 0E12E984
	buffer_load_dword v12, s[16:19], 0 offen lds               // 000000006D04: E0511000 8004000C
	s_add_u32 m0, 0x300, s37                                   // 000000006D0C: 807C25FF 00000300
	v_mfma_f32_16x16x16_bf16 v[132:135], a[134:135], v[118:119], v[132:135]// 000000006D14: D3E10084 0E12ED86
	v_mfma_f32_16x16x16_bf16 v[132:135], a[136:137], v[120:121], v[132:135]// 000000006D1C: D3E10084 0E12F188
	buffer_load_dwordx4 a[12:15], v26, s[20:23], 0 offen offset:3072// 000000006D24: E05C1C00 80850C1A
	v_mfma_f32_16x16x16_bf16 v[132:135], a[138:139], v[122:123], v[132:135]// 000000006D2C: D3E10084 0E12F58A
	v_mfma_f32_16x16x16_bf16 v[132:135], a[140:141], v[124:125], v[132:135]// 000000006D34: D3E10084 0E12F98C
	buffer_load_dword v13, s[16:19], 0 offen lds               // 000000006D3C: E0511000 8004000D
	s_add_u32 m0, 0x400, s37                                   // 000000006D44: 807C25FF 00000400
	v_mfma_f32_16x16x16_bf16 v[132:135], a[142:143], v[126:127], v[132:135]// 000000006D4C: D3E10084 0E12FD8E
	v_mfma_f32_16x16x16_bf16 v[136:139], a[144:145], v[96:97], v[136:139]// 000000006D54: D3E10088 0E22C190
	buffer_load_dwordx4 a[16:19], v27, s[20:23], 0 offen       // 000000006D5C: E05C1000 8085101B
	v_mfma_f32_16x16x16_bf16 v[136:139], a[146:147], v[98:99], v[136:139]// 000000006D64: D3E10088 0E22C592
	v_mfma_f32_16x16x16_bf16 v[136:139], a[148:149], v[100:101], v[136:139]// 000000006D6C: D3E10088 0E22C994
	buffer_load_dword v14, s[16:19], 0 offen lds               // 000000006D74: E0511000 8004000E
	s_add_u32 m0, 0x500, s37                                   // 000000006D7C: 807C25FF 00000500
	v_mfma_f32_16x16x16_bf16 v[136:139], a[150:151], v[102:103], v[136:139]// 000000006D84: D3E10088 0E22CD96
	v_mfma_f32_16x16x16_bf16 v[136:139], a[152:153], v[104:105], v[136:139]// 000000006D8C: D3E10088 0E22D198
	buffer_load_dwordx4 a[20:23], v27, s[20:23], 0 offen offset:1024// 000000006D94: E05C1400 8085141B
	v_mfma_f32_16x16x16_bf16 v[136:139], a[154:155], v[106:107], v[136:139]// 000000006D9C: D3E10088 0E22D59A
	v_mfma_f32_16x16x16_bf16 v[136:139], a[156:157], v[108:109], v[136:139]// 000000006DA4: D3E10088 0E22D99C
	buffer_load_dword v15, s[16:19], 0 offen lds               // 000000006DAC: E0511000 8004000F
	s_add_u32 m0, 0x600, s37                                   // 000000006DB4: 807C25FF 00000600
	v_mfma_f32_16x16x16_bf16 v[136:139], a[158:159], v[110:111], v[136:139]// 000000006DBC: D3E10088 0E22DD9E
	v_mfma_f32_16x16x16_bf16 v[140:143], a[144:145], v[112:113], v[140:143]// 000000006DC4: D3E1008C 0E32E190
	buffer_load_dwordx4 a[24:27], v27, s[20:23], 0 offen offset:2048// 000000006DCC: E05C1800 8085181B
	v_mfma_f32_16x16x16_bf16 v[140:143], a[146:147], v[114:115], v[140:143]// 000000006DD4: D3E1008C 0E32E592
	v_mfma_f32_16x16x16_bf16 v[140:143], a[148:149], v[116:117], v[140:143]// 000000006DDC: D3E1008C 0E32E994
	buffer_load_dword v16, s[16:19], 0 offen lds               // 000000006DE4: E0511000 80040010
	s_add_u32 m0, 0x700, s37                                   // 000000006DEC: 807C25FF 00000700
	v_mfma_f32_16x16x16_bf16 v[140:143], a[150:151], v[118:119], v[140:143]// 000000006DF4: D3E1008C 0E32ED96
	v_mfma_f32_16x16x16_bf16 v[140:143], a[152:153], v[120:121], v[140:143]// 000000006DFC: D3E1008C 0E32F198
	buffer_load_dwordx4 a[28:31], v27, s[20:23], 0 offen offset:3072// 000000006E04: E05C1C00 80851C1B
	v_mfma_f32_16x16x16_bf16 v[140:143], a[154:155], v[122:123], v[140:143]// 000000006E0C: D3E1008C 0E32F59A
	v_mfma_f32_16x16x16_bf16 v[140:143], a[156:157], v[124:125], v[140:143]// 000000006E14: D3E1008C 0E32F99C
	buffer_load_dword v17, s[16:19], 0 offen lds               // 000000006E1C: E0511000 80040011
	s_add_u32 m0, 0, s36                                       // 000000006E24: 807C2480
	v_mfma_f32_16x16x16_bf16 v[140:143], a[158:159], v[126:127], v[140:143]// 000000006E28: D3E1008C 0E32FD9E
	s_waitcnt vmcnt(32)                                        // 000000006E30: BF8C8F70
	v_mfma_f32_16x16x16_bf16 v[144:147], a[160:161], v[96:97], v[144:147]// 000000006E34: D3E10090 0E42C1A0
	buffer_load_dwordx4 a[32:35], v28, s[20:23], 0 offen       // 000000006E3C: E05C1000 8085201C
	v_mfma_f32_16x16x16_bf16 v[144:147], a[162:163], v[98:99], v[144:147]// 000000006E44: D3E10090 0E42C5A2
	v_mfma_f32_16x16x16_bf16 v[144:147], a[164:165], v[100:101], v[144:147]// 000000006E4C: D3E10090 0E42C9A4
	ds_read_b128 v[64:67], v2                                  // 000000006E54: D9FE0000 40000002
	v_mfma_f32_16x16x16_bf16 v[144:147], a[166:167], v[102:103], v[144:147]// 000000006E5C: D3E10090 0E42CDA6
	v_mfma_f32_16x16x16_bf16 v[144:147], a[168:169], v[104:105], v[144:147]// 000000006E64: D3E10090 0E42D1A8
	buffer_load_dwordx4 a[36:39], v28, s[20:23], 0 offen offset:1024// 000000006E6C: E05C1400 8085241C
	v_mfma_f32_16x16x16_bf16 v[144:147], a[170:171], v[106:107], v[144:147]// 000000006E74: D3E10090 0E42D5AA
	v_mfma_f32_16x16x16_bf16 v[144:147], a[172:173], v[108:109], v[144:147]// 000000006E7C: D3E10090 0E42D9AC
	ds_read_b128 v[68:71], v2 offset:64                        // 000000006E84: D9FE0040 44000002
	v_mfma_f32_16x16x16_bf16 v[144:147], a[174:175], v[110:111], v[144:147]// 000000006E8C: D3E10090 0E42DDAE
	v_mfma_f32_16x16x16_bf16 v[148:151], a[160:161], v[112:113], v[148:151]// 000000006E94: D3E10094 0E52E1A0
	buffer_load_dwordx4 a[40:43], v28, s[20:23], 0 offen offset:2048// 000000006E9C: E05C1800 8085281C
	v_mfma_f32_16x16x16_bf16 v[148:151], a[162:163], v[114:115], v[148:151]// 000000006EA4: D3E10094 0E52E5A2
	v_mfma_f32_16x16x16_bf16 v[148:151], a[164:165], v[116:117], v[148:151]// 000000006EAC: D3E10094 0E52E9A4
	ds_read_b128 v[72:75], v2 offset:128                       // 000000006EB4: D9FE0080 48000002
	v_mfma_f32_16x16x16_bf16 v[148:151], a[166:167], v[118:119], v[148:151]// 000000006EBC: D3E10094 0E52EDA6
	v_mfma_f32_16x16x16_bf16 v[148:151], a[168:169], v[120:121], v[148:151]// 000000006EC4: D3E10094 0E52F1A8
	buffer_load_dwordx4 a[44:47], v28, s[20:23], 0 offen offset:3072// 000000006ECC: E05C1C00 80852C1C
	v_mfma_f32_16x16x16_bf16 v[148:151], a[170:171], v[122:123], v[148:151]// 000000006ED4: D3E10094 0E52F5AA
	v_mfma_f32_16x16x16_bf16 v[148:151], a[172:173], v[124:125], v[148:151]// 000000006EDC: D3E10094 0E52F9AC
	ds_read_b128 v[76:79], v2 offset:192                       // 000000006EE4: D9FE00C0 4C000002
	v_mfma_f32_16x16x16_bf16 v[148:151], a[174:175], v[126:127], v[148:151]// 000000006EEC: D3E10094 0E52FDAE
	v_mfma_f32_16x16x16_bf16 v[152:155], a[176:177], v[96:97], v[152:155]// 000000006EF4: D3E10098 0E62C1B0
	buffer_load_dwordx4 a[48:51], v29, s[20:23], 0 offen       // 000000006EFC: E05C1000 8085301D
	v_mfma_f32_16x16x16_bf16 v[152:155], a[178:179], v[98:99], v[152:155]// 000000006F04: D3E10098 0E62C5B2
	v_mfma_f32_16x16x16_bf16 v[152:155], a[180:181], v[100:101], v[152:155]// 000000006F0C: D3E10098 0E62C9B4
	ds_read_b128 v[80:83], v2 offset:1024                      // 000000006F14: D9FE0400 50000002
	v_mfma_f32_16x16x16_bf16 v[152:155], a[182:183], v[102:103], v[152:155]// 000000006F1C: D3E10098 0E62CDB6
	v_mfma_f32_16x16x16_bf16 v[152:155], a[184:185], v[104:105], v[152:155]// 000000006F24: D3E10098 0E62D1B8
	buffer_load_dwordx4 a[52:55], v29, s[20:23], 0 offen offset:1024// 000000006F2C: E05C1400 8085341D
	v_mfma_f32_16x16x16_bf16 v[152:155], a[186:187], v[106:107], v[152:155]// 000000006F34: D3E10098 0E62D5BA
	v_mfma_f32_16x16x16_bf16 v[152:155], a[188:189], v[108:109], v[152:155]// 000000006F3C: D3E10098 0E62D9BC
	ds_read_b128 v[84:87], v2 offset:1088                      // 000000006F44: D9FE0440 54000002
	v_mfma_f32_16x16x16_bf16 v[152:155], a[190:191], v[110:111], v[152:155]// 000000006F4C: D3E10098 0E62DDBE
	v_mfma_f32_16x16x16_bf16 v[156:159], a[176:177], v[112:113], v[156:159]// 000000006F54: D3E1009C 0E72E1B0
	buffer_load_dwordx4 a[56:59], v29, s[20:23], 0 offen offset:2048// 000000006F5C: E05C1800 8085381D
	v_mfma_f32_16x16x16_bf16 v[156:159], a[178:179], v[114:115], v[156:159]// 000000006F64: D3E1009C 0E72E5B2
	v_mfma_f32_16x16x16_bf16 v[156:159], a[180:181], v[116:117], v[156:159]// 000000006F6C: D3E1009C 0E72E9B4
	ds_read_b128 v[88:91], v2 offset:1152                      // 000000006F74: D9FE0480 58000002
	v_mfma_f32_16x16x16_bf16 v[156:159], a[182:183], v[118:119], v[156:159]// 000000006F7C: D3E1009C 0E72EDB6
	v_mfma_f32_16x16x16_bf16 v[156:159], a[184:185], v[120:121], v[156:159]// 000000006F84: D3E1009C 0E72F1B8
	buffer_load_dwordx4 a[60:63], v29, s[20:23], 0 offen offset:3072// 000000006F8C: E05C1C00 80853C1D
	v_mfma_f32_16x16x16_bf16 v[156:159], a[186:187], v[122:123], v[156:159]// 000000006F94: D3E1009C 0E72F5BA
	v_mfma_f32_16x16x16_bf16 v[156:159], a[188:189], v[124:125], v[156:159]// 000000006F9C: D3E1009C 0E72F9BC
	ds_read_b128 v[92:95], v2 offset:1216                      // 000000006FA4: D9FE04C0 5C000002
	v_mfma_f32_16x16x16_bf16 v[156:159], a[190:191], v[126:127], v[156:159]// 000000006FAC: D3E1009C 0E72FDBE
	s_waitcnt vmcnt(32)                                        // 000000006FB4: BF8C8F70
	v_mfma_f32_16x16x16_bf16 v[160:163], a[192:193], v[96:97], v[160:163]// 000000006FB8: D3E100A0 0E82C1C0
	buffer_load_dwordx4 a[64:67], v30, s[20:23], 0 offen       // 000000006FC0: E05C1000 8085401E
	v_mfma_f32_16x16x16_bf16 v[160:163], a[194:195], v[98:99], v[160:163]// 000000006FC8: D3E100A0 0E82C5C2
	v_mfma_f32_16x16x16_bf16 v[160:163], a[196:197], v[100:101], v[160:163]// 000000006FD0: D3E100A0 0E82C9C4
	s_add_u32 s60, 0x180, s80                                  // 000000006FD8: 803C50FF 00000180
	s_cmp_lt_u32 s60, s81                                      // 000000006FE0: BF0A513C
	s_cselect_b32 s57, s57, 0                                  // 000000006FE4: 85398039
	v_mfma_f32_16x16x16_bf16 v[160:163], a[198:199], v[102:103], v[160:163]// 000000006FE8: D3E100A0 0E82CDC6
	v_mfma_f32_16x16x16_bf16 v[160:163], a[200:201], v[104:105], v[160:163]// 000000006FF0: D3E100A0 0E82D1C8
	buffer_load_dwordx4 a[68:71], v30, s[20:23], 0 offen offset:1024// 000000006FF8: E05C1400 8085441E
	v_mfma_f32_16x16x16_bf16 v[160:163], a[202:203], v[106:107], v[160:163]// 000000007000: D3E100A0 0E82D5CA
	v_mfma_f32_16x16x16_bf16 v[160:163], a[204:205], v[108:109], v[160:163]// 000000007008: D3E100A0 0E82D9CC
	s_add_u32 s60, 0x100, s80                                  // 000000007010: 803C50FF 00000100
	s_cmp_lt_u32 s60, s81                                      // 000000007018: BF0A513C
	s_cselect_b32 s58, s58, 0                                  // 00000000701C: 853A803A
	v_mfma_f32_16x16x16_bf16 v[160:163], a[206:207], v[110:111], v[160:163]// 000000007020: D3E100A0 0E82DDCE
	v_mfma_f32_16x16x16_bf16 v[164:167], a[192:193], v[112:113], v[164:167]// 000000007028: D3E100A4 0E92E1C0
	buffer_load_dwordx4 a[72:75], v30, s[20:23], 0 offen offset:2048// 000000007030: E05C1800 8085481E
	v_mfma_f32_16x16x16_bf16 v[164:167], a[194:195], v[114:115], v[164:167]// 000000007038: D3E100A4 0E92E5C2
	v_mfma_f32_16x16x16_bf16 v[164:167], a[196:197], v[116:117], v[164:167]// 000000007040: D3E100A4 0E92E9C4
	s_add_u32 s16, s57, s16                                    // 000000007048: 80101039
	s_addc_u32 s17, 0, s17                                     // 00000000704C: 82111180
	v_mfma_f32_16x16x16_bf16 v[164:167], a[198:199], v[118:119], v[164:167]// 000000007050: D3E100A4 0E92EDC6
	v_mfma_f32_16x16x16_bf16 v[164:167], a[200:201], v[120:121], v[164:167]// 000000007058: D3E100A4 0E92F1C8
	buffer_load_dwordx4 a[76:79], v30, s[20:23], 0 offen offset:3072// 000000007060: E05C1C00 80854C1E
	v_mfma_f32_16x16x16_bf16 v[164:167], a[202:203], v[122:123], v[164:167]// 000000007068: D3E100A4 0E92F5CA
	v_mfma_f32_16x16x16_bf16 v[164:167], a[204:205], v[124:125], v[164:167]// 000000007070: D3E100A4 0E92F9CC
	v_mfma_f32_16x16x16_bf16 v[164:167], a[206:207], v[126:127], v[164:167]// 000000007078: D3E100A4 0E92FDCE
	v_mfma_f32_16x16x16_bf16 v[168:171], a[208:209], v[96:97], v[168:171]// 000000007080: D3E100A8 0EA2C1D0
	buffer_load_dwordx4 a[80:83], v31, s[20:23], 0 offen       // 000000007088: E05C1000 8085501F
	v_mfma_f32_16x16x16_bf16 v[168:171], a[210:211], v[98:99], v[168:171]// 000000007090: D3E100A8 0EA2C5D2
	v_mfma_f32_16x16x16_bf16 v[168:171], a[212:213], v[100:101], v[168:171]// 000000007098: D3E100A8 0EA2C9D4
	v_mfma_f32_16x16x16_bf16 v[168:171], a[214:215], v[102:103], v[168:171]// 0000000070A0: D3E100A8 0EA2CDD6
	v_mfma_f32_16x16x16_bf16 v[168:171], a[216:217], v[104:105], v[168:171]// 0000000070A8: D3E100A8 0EA2D1D8
	buffer_load_dwordx4 a[84:87], v31, s[20:23], 0 offen offset:1024// 0000000070B0: E05C1400 8085541F
	v_mfma_f32_16x16x16_bf16 v[168:171], a[218:219], v[106:107], v[168:171]// 0000000070B8: D3E100A8 0EA2D5DA
	v_mfma_f32_16x16x16_bf16 v[168:171], a[220:221], v[108:109], v[168:171]// 0000000070C0: D3E100A8 0EA2D9DC
	v_mfma_f32_16x16x16_bf16 v[168:171], a[222:223], v[110:111], v[168:171]// 0000000070C8: D3E100A8 0EA2DDDE
	v_mfma_f32_16x16x16_bf16 v[172:175], a[208:209], v[112:113], v[172:175]// 0000000070D0: D3E100AC 0EB2E1D0
	buffer_load_dwordx4 a[88:91], v31, s[20:23], 0 offen offset:2048// 0000000070D8: E05C1800 8085581F
	v_mfma_f32_16x16x16_bf16 v[172:175], a[210:211], v[114:115], v[172:175]// 0000000070E0: D3E100AC 0EB2E5D2
	v_mfma_f32_16x16x16_bf16 v[172:175], a[212:213], v[116:117], v[172:175]// 0000000070E8: D3E100AC 0EB2E9D4
	v_mfma_f32_16x16x16_bf16 v[172:175], a[214:215], v[118:119], v[172:175]// 0000000070F0: D3E100AC 0EB2EDD6
	v_mfma_f32_16x16x16_bf16 v[172:175], a[216:217], v[120:121], v[172:175]// 0000000070F8: D3E100AC 0EB2F1D8
	buffer_load_dwordx4 a[92:95], v31, s[20:23], 0 offen offset:3072// 000000007100: E05C1C00 80855C1F
	v_mfma_f32_16x16x16_bf16 v[172:175], a[218:219], v[122:123], v[172:175]// 000000007108: D3E100AC 0EB2F5DA
	v_mfma_f32_16x16x16_bf16 v[172:175], a[220:221], v[124:125], v[172:175]// 000000007110: D3E100AC 0EB2F9DC
	v_mfma_f32_16x16x16_bf16 v[172:175], a[222:223], v[126:127], v[172:175]// 000000007118: D3E100AC 0EB2FDDE
	s_waitcnt vmcnt(32)                                        // 000000007120: BF8C8F70
	v_mfma_f32_16x16x16_bf16 v[176:179], a[224:225], v[96:97], v[176:179]// 000000007124: D3E100B0 0EC2C1E0
	buffer_load_dwordx4 a[96:99], v32, s[20:23], 0 offen       // 00000000712C: E05C1000 80856020
	v_mfma_f32_16x16x16_bf16 v[176:179], a[226:227], v[98:99], v[176:179]// 000000007134: D3E100B0 0EC2C5E2
	v_mfma_f32_16x16x16_bf16 v[176:179], a[228:229], v[100:101], v[176:179]// 00000000713C: D3E100B0 0EC2C9E4
	v_mfma_f32_16x16x16_bf16 v[176:179], a[230:231], v[102:103], v[176:179]// 000000007144: D3E100B0 0EC2CDE6
	v_mfma_f32_16x16x16_bf16 v[176:179], a[232:233], v[104:105], v[176:179]// 00000000714C: D3E100B0 0EC2D1E8
	buffer_load_dwordx4 a[100:103], v32, s[20:23], 0 offen offset:1024// 000000007154: E05C1400 80856420
	v_mfma_f32_16x16x16_bf16 v[176:179], a[234:235], v[106:107], v[176:179]// 00000000715C: D3E100B0 0EC2D5EA
	v_mfma_f32_16x16x16_bf16 v[176:179], a[236:237], v[108:109], v[176:179]// 000000007164: D3E100B0 0EC2D9EC
	v_mfma_f32_16x16x16_bf16 v[176:179], a[238:239], v[110:111], v[176:179]// 00000000716C: D3E100B0 0EC2DDEE
	v_mfma_f32_16x16x16_bf16 v[180:183], a[224:225], v[112:113], v[180:183]// 000000007174: D3E100B4 0ED2E1E0
	buffer_load_dwordx4 a[104:107], v32, s[20:23], 0 offen offset:2048// 00000000717C: E05C1800 80856820
	v_mfma_f32_16x16x16_bf16 v[180:183], a[226:227], v[114:115], v[180:183]// 000000007184: D3E100B4 0ED2E5E2
	v_mfma_f32_16x16x16_bf16 v[180:183], a[228:229], v[116:117], v[180:183]// 00000000718C: D3E100B4 0ED2E9E4
	v_mfma_f32_16x16x16_bf16 v[180:183], a[230:231], v[118:119], v[180:183]// 000000007194: D3E100B4 0ED2EDE6
	v_mfma_f32_16x16x16_bf16 v[180:183], a[232:233], v[120:121], v[180:183]// 00000000719C: D3E100B4 0ED2F1E8
	buffer_load_dwordx4 a[108:111], v32, s[20:23], 0 offen offset:3072// 0000000071A4: E05C1C00 80856C20
	v_mfma_f32_16x16x16_bf16 v[180:183], a[234:235], v[122:123], v[180:183]// 0000000071AC: D3E100B4 0ED2F5EA
	v_mfma_f32_16x16x16_bf16 v[180:183], a[236:237], v[124:125], v[180:183]// 0000000071B4: D3E100B4 0ED2F9EC
	v_mfma_f32_16x16x16_bf16 v[180:183], a[238:239], v[126:127], v[180:183]// 0000000071BC: D3E100B4 0ED2FDEE
	v_mfma_f32_16x16x16_bf16 v[184:187], a[240:241], v[96:97], v[184:187]// 0000000071C4: D3E100B8 0EE2C1F0
	buffer_load_dwordx4 a[112:115], v33, s[20:23], 0 offen     // 0000000071CC: E05C1000 80857021
	v_mfma_f32_16x16x16_bf16 v[184:187], a[242:243], v[98:99], v[184:187]// 0000000071D4: D3E100B8 0EE2C5F2
	v_mfma_f32_16x16x16_bf16 v[184:187], a[244:245], v[100:101], v[184:187]// 0000000071DC: D3E100B8 0EE2C9F4
	v_mfma_f32_16x16x16_bf16 v[184:187], a[246:247], v[102:103], v[184:187]// 0000000071E4: D3E100B8 0EE2CDF6
	v_mfma_f32_16x16x16_bf16 v[184:187], a[248:249], v[104:105], v[184:187]// 0000000071EC: D3E100B8 0EE2D1F8
	buffer_load_dwordx4 a[116:119], v33, s[20:23], 0 offen offset:1024// 0000000071F4: E05C1400 80857421
	v_mfma_f32_16x16x16_bf16 v[184:187], a[250:251], v[106:107], v[184:187]// 0000000071FC: D3E100B8 0EE2D5FA
	v_mfma_f32_16x16x16_bf16 v[184:187], a[252:253], v[108:109], v[184:187]// 000000007204: D3E100B8 0EE2D9FC
	v_mfma_f32_16x16x16_bf16 v[184:187], a[254:255], v[110:111], v[184:187]// 00000000720C: D3E100B8 0EE2DDFE
	v_mfma_f32_16x16x16_bf16 v[188:191], a[240:241], v[112:113], v[188:191]// 000000007214: D3E100BC 0EF2E1F0
	buffer_load_dwordx4 a[120:123], v33, s[20:23], 0 offen offset:2048// 00000000721C: E05C1800 80857821
	v_mfma_f32_16x16x16_bf16 v[188:191], a[242:243], v[114:115], v[188:191]// 000000007224: D3E100BC 0EF2E5F2
	v_mfma_f32_16x16x16_bf16 v[188:191], a[244:245], v[116:117], v[188:191]// 00000000722C: D3E100BC 0EF2E9F4
	v_mfma_f32_16x16x16_bf16 v[188:191], a[246:247], v[118:119], v[188:191]// 000000007234: D3E100BC 0EF2EDF6
	v_mfma_f32_16x16x16_bf16 v[188:191], a[248:249], v[120:121], v[188:191]// 00000000723C: D3E100BC 0EF2F1F8
	buffer_load_dwordx4 a[124:127], v33, s[20:23], 0 offen offset:3072// 000000007244: E05C1C00 80857C21
	v_mfma_f32_16x16x16_bf16 v[188:191], a[250:251], v[122:123], v[188:191]// 00000000724C: D3E100BC 0EF2F5FA
	v_mfma_f32_16x16x16_bf16 v[188:191], a[252:253], v[124:125], v[188:191]// 000000007254: D3E100BC 0EF2F9FC
	s_add_u32 s20, s58, s20                                    // 00000000725C: 8014143A
	s_addc_u32 s21, 0, s21                                     // 000000007260: 82151580
	v_mfma_f32_16x16x16_bf16 v[188:191], a[254:255], v[126:127], v[188:191]// 000000007264: D3E100BC 0EF2FDFE
	s_addk_i32 s80, 0x80                                       // 00000000726C: B7500080
	s_cmp_lt_i32 s80, s81                                      // 000000007270: BF045150
	s_cbranch_scc0 label_111F                                  // 000000007274: BF840001
	s_branch label_0E18                                        // 000000007278: BF82FCF9

000000000000727c <label_111F>:
	s_mov_b32 s38, -1                                          // 00000000727C: BEA600C1
	s_mov_b32 s39, -1                                          // 000000007280: BEA700C1
	s_mov_b64 s[60:61], 0                                      // 000000007284: BEBC0180
	s_cmp_lt_u32 s82, s66                                      // 000000007288: BF0A4252
	s_cselect_b64 s[16:17], s[38:39], s[60:61]                 // 00000000728C: 85903C26
	s_cmp_lt_u32 s83, s66                                      // 000000007290: BF0A4253
	s_cselect_b64 s[18:19], s[38:39], s[60:61]                 // 000000007294: 85923C26
	s_cmp_lt_u32 s84, s66                                      // 000000007298: BF0A4254
	s_cselect_b64 s[20:21], s[38:39], s[60:61]                 // 00000000729C: 85943C26
	s_cmp_lt_u32 s85, s66                                      // 0000000072A0: BF0A4255
	s_cselect_b64 s[22:23], s[38:39], s[60:61]                 // 0000000072A4: 85963C26
	s_cmp_lt_u32 s86, s66                                      // 0000000072A8: BF0A4256
	s_cselect_b64 s[24:25], s[38:39], s[60:61]                 // 0000000072AC: 85983C26
	s_cmp_lt_u32 s87, s66                                      // 0000000072B0: BF0A4257
	s_cselect_b64 s[26:27], s[38:39], s[60:61]                 // 0000000072B4: 859A3C26
	s_cmp_lt_u32 s88, s66                                      // 0000000072B8: BF0A4258
	s_cselect_b64 s[28:29], s[38:39], s[60:61]                 // 0000000072BC: 859C3C26
	s_cmp_lt_u32 s89, s66                                      // 0000000072C0: BF0A4259
	s_cselect_b64 s[30:31], s[38:39], s[60:61]                 // 0000000072C4: 859E3C26
	s_waitcnt vmcnt(24)                                        // 0000000072C8: BF8C4F78
	buffer_load_dwordx4 a[0:3], v18, s[12:15], 0 offen         // 0000000072CC: E05C1000 80830012
	v_mul_f32_e32 v54, v128, v128                              // 0000000072D4: 0A6D0180
	v_mul_f32_e32 v55, v129, v129                              // 0000000072D8: 0A6F0381
	v_mul_f32_e32 v56, v130, v130                              // 0000000072DC: 0A710582
	v_mul_f32_e32 v57, v131, v131                              // 0000000072E0: 0A730783
	v_fma_f32 v54, v54, s77, v5                                // 0000000072E4: D1CB0036 04149B36
	v_fma_f32 v55, v55, s77, v5                                // 0000000072EC: D1CB0037 04149B37
	v_fma_f32 v56, v56, s77, v5                                // 0000000072F4: D1CB0038 04149B38
	v_fma_f32 v57, v57, s77, v5                                // 0000000072FC: D1CB0039 04149B39
	v_mul_f32_e32 v54, v54, v128                               // 000000007304: 0A6D0136
	v_mul_f32_e32 v55, v55, v129                               // 000000007308: 0A6F0337
	v_mul_f32_e32 v56, v56, v130                               // 00000000730C: 0A710538
	v_mul_f32_e32 v57, v57, v131                               // 000000007310: 0A730739
	v_mul_f32_e64 v54, v54, s6                                 // 000000007314: D1050036 00000D36
	v_mul_f32_e64 v55, v55, s6                                 // 00000000731C: D1050037 00000D37
	v_mul_f32_e64 v56, v56, s6                                 // 000000007324: D1050038 00000D38
	v_mul_f32_e64 v57, v57, s6                                 // 00000000732C: D1050039 00000D39
	v_exp_f32_e32 v54, v54                                     // 000000007334: 7E6C4136
	v_exp_f32_e32 v55, v55                                     // 000000007338: 7E6E4137
	v_exp_f32_e32 v56, v56                                     // 00000000733C: 7E704138
	v_exp_f32_e32 v57, v57                                     // 000000007340: 7E724139
	buffer_load_dwordx4 a[4:7], v18, s[12:15], 0 offen offset:1024// 000000007344: E05C1400 80830412
	v_add_f32_e64 v54, v54, 1.0                                // 00000000734C: D1010036 0001E536
	v_add_f32_e64 v55, v55, 1.0                                // 000000007354: D1010037 0001E537
	v_add_f32_e64 v56, v56, 1.0                                // 00000000735C: D1010038 0001E538
	v_add_f32_e64 v57, v57, 1.0                                // 000000007364: D1010039 0001E539
	v_rcp_f32_e32 v54, v54                                     // 00000000736C: 7E6C4536
	v_rcp_f32_e32 v55, v55                                     // 000000007370: 7E6E4537
	v_rcp_f32_e32 v56, v56                                     // 000000007374: 7E704538
	v_rcp_f32_e32 v57, v57                                     // 000000007378: 7E724539
	v_mul_f32_e32 v128, v128, v54                              // 00000000737C: 0B006D80
	v_mul_f32_e32 v129, v129, v55                              // 000000007380: 0B026F81
	v_mul_f32_e32 v130, v130, v56                              // 000000007384: 0B047182
	v_mul_f32_e32 v131, v131, v57                              // 000000007388: 0B067383
	buffer_load_dwordx4 a[8:11], v18, s[12:15], 0 offen offset:2048// 00000000738C: E05C1800 80830812
	v_mul_f32_e32 v54, v132, v132                              // 000000007394: 0A6D0984
	v_mul_f32_e32 v55, v133, v133                              // 000000007398: 0A6F0B85
	v_mul_f32_e32 v56, v134, v134                              // 00000000739C: 0A710D86
	v_mul_f32_e32 v57, v135, v135                              // 0000000073A0: 0A730F87
	v_fma_f32 v54, v54, s77, v5                                // 0000000073A4: D1CB0036 04149B36
	v_fma_f32 v55, v55, s77, v5                                // 0000000073AC: D1CB0037 04149B37
	v_fma_f32 v56, v56, s77, v5                                // 0000000073B4: D1CB0038 04149B38
	v_fma_f32 v57, v57, s77, v5                                // 0000000073BC: D1CB0039 04149B39
	v_mul_f32_e32 v54, v54, v132                               // 0000000073C4: 0A6D0936
	v_mul_f32_e32 v55, v55, v133                               // 0000000073C8: 0A6F0B37
	v_mul_f32_e32 v56, v56, v134                               // 0000000073CC: 0A710D38
	v_mul_f32_e32 v57, v57, v135                               // 0000000073D0: 0A730F39
	v_mul_f32_e64 v54, v54, s6                                 // 0000000073D4: D1050036 00000D36
	v_mul_f32_e64 v55, v55, s6                                 // 0000000073DC: D1050037 00000D37
	v_mul_f32_e64 v56, v56, s6                                 // 0000000073E4: D1050038 00000D38
	v_mul_f32_e64 v57, v57, s6                                 // 0000000073EC: D1050039 00000D39
	v_exp_f32_e32 v54, v54                                     // 0000000073F4: 7E6C4136
	v_exp_f32_e32 v55, v55                                     // 0000000073F8: 7E6E4137
	v_exp_f32_e32 v56, v56                                     // 0000000073FC: 7E704138
	v_exp_f32_e32 v57, v57                                     // 000000007400: 7E724139
	buffer_load_dwordx4 a[12:15], v18, s[12:15], 0 offen offset:3072// 000000007404: E05C1C00 80830C12
	v_add_f32_e64 v54, v54, 1.0                                // 00000000740C: D1010036 0001E536
	v_add_f32_e64 v55, v55, 1.0                                // 000000007414: D1010037 0001E537
	v_add_f32_e64 v56, v56, 1.0                                // 00000000741C: D1010038 0001E538
	v_add_f32_e64 v57, v57, 1.0                                // 000000007424: D1010039 0001E539
	v_rcp_f32_e32 v54, v54                                     // 00000000742C: 7E6C4536
	v_rcp_f32_e32 v55, v55                                     // 000000007430: 7E6E4537
	v_rcp_f32_e32 v56, v56                                     // 000000007434: 7E704538
	v_rcp_f32_e32 v57, v57                                     // 000000007438: 7E724539
	v_mul_f32_e32 v132, v132, v54                              // 00000000743C: 0B086D84
	v_mul_f32_e32 v133, v133, v55                              // 000000007440: 0B0A6F85
	v_mul_f32_e32 v134, v134, v56                              // 000000007444: 0B0C7186
	v_mul_f32_e32 v135, v135, v57                              // 000000007448: 0B0E7387
	buffer_load_dwordx4 a[16:19], v19, s[12:15], 0 offen       // 00000000744C: E05C1000 80831013
	v_mul_f32_e32 v54, v136, v136                              // 000000007454: 0A6D1188
	v_mul_f32_e32 v55, v137, v137                              // 000000007458: 0A6F1389
	v_mul_f32_e32 v56, v138, v138                              // 00000000745C: 0A71158A
	v_mul_f32_e32 v57, v139, v139                              // 000000007460: 0A73178B
	v_fma_f32 v54, v54, s77, v5                                // 000000007464: D1CB0036 04149B36
	v_fma_f32 v55, v55, s77, v5                                // 00000000746C: D1CB0037 04149B37
	v_fma_f32 v56, v56, s77, v5                                // 000000007474: D1CB0038 04149B38
	v_fma_f32 v57, v57, s77, v5                                // 00000000747C: D1CB0039 04149B39
	v_mul_f32_e32 v54, v54, v136                               // 000000007484: 0A6D1136
	v_mul_f32_e32 v55, v55, v137                               // 000000007488: 0A6F1337
	v_mul_f32_e32 v56, v56, v138                               // 00000000748C: 0A711538
	v_mul_f32_e32 v57, v57, v139                               // 000000007490: 0A731739
	v_mul_f32_e64 v54, v54, s6                                 // 000000007494: D1050036 00000D36
	v_mul_f32_e64 v55, v55, s6                                 // 00000000749C: D1050037 00000D37
	v_mul_f32_e64 v56, v56, s6                                 // 0000000074A4: D1050038 00000D38
	v_mul_f32_e64 v57, v57, s6                                 // 0000000074AC: D1050039 00000D39
	v_exp_f32_e32 v54, v54                                     // 0000000074B4: 7E6C4136
	v_exp_f32_e32 v55, v55                                     // 0000000074B8: 7E6E4137
	v_exp_f32_e32 v56, v56                                     // 0000000074BC: 7E704138
	v_exp_f32_e32 v57, v57                                     // 0000000074C0: 7E724139
	buffer_load_dwordx4 a[20:23], v19, s[12:15], 0 offen offset:1024// 0000000074C4: E05C1400 80831413
	v_add_f32_e64 v54, v54, 1.0                                // 0000000074CC: D1010036 0001E536
	v_add_f32_e64 v55, v55, 1.0                                // 0000000074D4: D1010037 0001E537
	v_add_f32_e64 v56, v56, 1.0                                // 0000000074DC: D1010038 0001E538
	v_add_f32_e64 v57, v57, 1.0                                // 0000000074E4: D1010039 0001E539
	v_rcp_f32_e32 v54, v54                                     // 0000000074EC: 7E6C4536
	v_rcp_f32_e32 v55, v55                                     // 0000000074F0: 7E6E4537
	v_rcp_f32_e32 v56, v56                                     // 0000000074F4: 7E704538
	v_rcp_f32_e32 v57, v57                                     // 0000000074F8: 7E724539
	v_mul_f32_e32 v136, v136, v54                              // 0000000074FC: 0B106D88
	v_mul_f32_e32 v137, v137, v55                              // 000000007500: 0B126F89
	v_mul_f32_e32 v138, v138, v56                              // 000000007504: 0B14718A
	v_mul_f32_e32 v139, v139, v57                              // 000000007508: 0B16738B
	buffer_load_dwordx4 a[24:27], v19, s[12:15], 0 offen offset:2048// 00000000750C: E05C1800 80831813
	v_mul_f32_e32 v54, v140, v140                              // 000000007514: 0A6D198C
	v_mul_f32_e32 v55, v141, v141                              // 000000007518: 0A6F1B8D
	v_mul_f32_e32 v56, v142, v142                              // 00000000751C: 0A711D8E
	v_mul_f32_e32 v57, v143, v143                              // 000000007520: 0A731F8F
	v_fma_f32 v54, v54, s77, v5                                // 000000007524: D1CB0036 04149B36
	v_fma_f32 v55, v55, s77, v5                                // 00000000752C: D1CB0037 04149B37
	v_fma_f32 v56, v56, s77, v5                                // 000000007534: D1CB0038 04149B38
	v_fma_f32 v57, v57, s77, v5                                // 00000000753C: D1CB0039 04149B39
	v_mul_f32_e32 v54, v54, v140                               // 000000007544: 0A6D1936
	v_mul_f32_e32 v55, v55, v141                               // 000000007548: 0A6F1B37
	v_mul_f32_e32 v56, v56, v142                               // 00000000754C: 0A711D38
	v_mul_f32_e32 v57, v57, v143                               // 000000007550: 0A731F39
	v_mul_f32_e64 v54, v54, s6                                 // 000000007554: D1050036 00000D36
	v_mul_f32_e64 v55, v55, s6                                 // 00000000755C: D1050037 00000D37
	v_mul_f32_e64 v56, v56, s6                                 // 000000007564: D1050038 00000D38
	v_mul_f32_e64 v57, v57, s6                                 // 00000000756C: D1050039 00000D39
	v_exp_f32_e32 v54, v54                                     // 000000007574: 7E6C4136
	v_exp_f32_e32 v55, v55                                     // 000000007578: 7E6E4137
	v_exp_f32_e32 v56, v56                                     // 00000000757C: 7E704138
	v_exp_f32_e32 v57, v57                                     // 000000007580: 7E724139
	buffer_load_dwordx4 a[28:31], v19, s[12:15], 0 offen offset:3072// 000000007584: E05C1C00 80831C13
	v_add_f32_e64 v54, v54, 1.0                                // 00000000758C: D1010036 0001E536
	v_add_f32_e64 v55, v55, 1.0                                // 000000007594: D1010037 0001E537
	v_add_f32_e64 v56, v56, 1.0                                // 00000000759C: D1010038 0001E538
	v_add_f32_e64 v57, v57, 1.0                                // 0000000075A4: D1010039 0001E539
	v_rcp_f32_e32 v54, v54                                     // 0000000075AC: 7E6C4536
	v_rcp_f32_e32 v55, v55                                     // 0000000075B0: 7E6E4537
	v_rcp_f32_e32 v56, v56                                     // 0000000075B4: 7E704538
	v_rcp_f32_e32 v57, v57                                     // 0000000075B8: 7E724539
	v_mul_f32_e32 v140, v140, v54                              // 0000000075BC: 0B186D8C
	v_mul_f32_e32 v141, v141, v55                              // 0000000075C0: 0B1A6F8D
	v_mul_f32_e32 v142, v142, v56                              // 0000000075C4: 0B1C718E
	v_mul_f32_e32 v143, v143, v57                              // 0000000075C8: 0B1E738F
	s_waitcnt vmcnt(24)                                        // 0000000075CC: BF8C4F78
	buffer_load_dwordx4 a[32:35], v20, s[12:15], 0 offen       // 0000000075D0: E05C1000 80832014
	v_mul_f32_e32 v54, v144, v144                              // 0000000075D8: 0A6D2190
	v_mul_f32_e32 v55, v145, v145                              // 0000000075DC: 0A6F2391
	v_mul_f32_e32 v56, v146, v146                              // 0000000075E0: 0A712592
	v_mul_f32_e32 v57, v147, v147                              // 0000000075E4: 0A732793
	v_fma_f32 v54, v54, s77, v5                                // 0000000075E8: D1CB0036 04149B36
	v_fma_f32 v55, v55, s77, v5                                // 0000000075F0: D1CB0037 04149B37
	v_fma_f32 v56, v56, s77, v5                                // 0000000075F8: D1CB0038 04149B38
	v_fma_f32 v57, v57, s77, v5                                // 000000007600: D1CB0039 04149B39
	v_mul_f32_e32 v54, v54, v144                               // 000000007608: 0A6D2136
	v_mul_f32_e32 v55, v55, v145                               // 00000000760C: 0A6F2337
	v_mul_f32_e32 v56, v56, v146                               // 000000007610: 0A712538
	v_mul_f32_e32 v57, v57, v147                               // 000000007614: 0A732739
	v_mul_f32_e64 v54, v54, s6                                 // 000000007618: D1050036 00000D36
	v_mul_f32_e64 v55, v55, s6                                 // 000000007620: D1050037 00000D37
	v_mul_f32_e64 v56, v56, s6                                 // 000000007628: D1050038 00000D38
	v_mul_f32_e64 v57, v57, s6                                 // 000000007630: D1050039 00000D39
	v_exp_f32_e32 v54, v54                                     // 000000007638: 7E6C4136
	v_exp_f32_e32 v55, v55                                     // 00000000763C: 7E6E4137
	v_exp_f32_e32 v56, v56                                     // 000000007640: 7E704138
	v_exp_f32_e32 v57, v57                                     // 000000007644: 7E724139
	buffer_load_dwordx4 a[36:39], v20, s[12:15], 0 offen offset:1024// 000000007648: E05C1400 80832414
	v_add_f32_e64 v54, v54, 1.0                                // 000000007650: D1010036 0001E536
	v_add_f32_e64 v55, v55, 1.0                                // 000000007658: D1010037 0001E537
	v_add_f32_e64 v56, v56, 1.0                                // 000000007660: D1010038 0001E538
	v_add_f32_e64 v57, v57, 1.0                                // 000000007668: D1010039 0001E539
	v_rcp_f32_e32 v54, v54                                     // 000000007670: 7E6C4536
	v_rcp_f32_e32 v55, v55                                     // 000000007674: 7E6E4537
	v_rcp_f32_e32 v56, v56                                     // 000000007678: 7E704538
	v_rcp_f32_e32 v57, v57                                     // 00000000767C: 7E724539
	v_mul_f32_e32 v144, v144, v54                              // 000000007680: 0B206D90
	v_mul_f32_e32 v145, v145, v55                              // 000000007684: 0B226F91
	v_mul_f32_e32 v146, v146, v56                              // 000000007688: 0B247192
	v_mul_f32_e32 v147, v147, v57                              // 00000000768C: 0B267393
	buffer_load_dwordx4 a[40:43], v20, s[12:15], 0 offen offset:2048// 000000007690: E05C1800 80832814
	v_mul_f32_e32 v54, v148, v148                              // 000000007698: 0A6D2994
	v_mul_f32_e32 v55, v149, v149                              // 00000000769C: 0A6F2B95
	v_mul_f32_e32 v56, v150, v150                              // 0000000076A0: 0A712D96
	v_mul_f32_e32 v57, v151, v151                              // 0000000076A4: 0A732F97
	v_fma_f32 v54, v54, s77, v5                                // 0000000076A8: D1CB0036 04149B36
	v_fma_f32 v55, v55, s77, v5                                // 0000000076B0: D1CB0037 04149B37
	v_fma_f32 v56, v56, s77, v5                                // 0000000076B8: D1CB0038 04149B38
	v_fma_f32 v57, v57, s77, v5                                // 0000000076C0: D1CB0039 04149B39
	v_mul_f32_e32 v54, v54, v148                               // 0000000076C8: 0A6D2936
	v_mul_f32_e32 v55, v55, v149                               // 0000000076CC: 0A6F2B37
	v_mul_f32_e32 v56, v56, v150                               // 0000000076D0: 0A712D38
	v_mul_f32_e32 v57, v57, v151                               // 0000000076D4: 0A732F39
	v_mul_f32_e64 v54, v54, s6                                 // 0000000076D8: D1050036 00000D36
	v_mul_f32_e64 v55, v55, s6                                 // 0000000076E0: D1050037 00000D37
	v_mul_f32_e64 v56, v56, s6                                 // 0000000076E8: D1050038 00000D38
	v_mul_f32_e64 v57, v57, s6                                 // 0000000076F0: D1050039 00000D39
	v_exp_f32_e32 v54, v54                                     // 0000000076F8: 7E6C4136
	v_exp_f32_e32 v55, v55                                     // 0000000076FC: 7E6E4137
	v_exp_f32_e32 v56, v56                                     // 000000007700: 7E704138
	v_exp_f32_e32 v57, v57                                     // 000000007704: 7E724139
	buffer_load_dwordx4 a[44:47], v20, s[12:15], 0 offen offset:3072// 000000007708: E05C1C00 80832C14
	v_add_f32_e64 v54, v54, 1.0                                // 000000007710: D1010036 0001E536
	v_add_f32_e64 v55, v55, 1.0                                // 000000007718: D1010037 0001E537
	v_add_f32_e64 v56, v56, 1.0                                // 000000007720: D1010038 0001E538
	v_add_f32_e64 v57, v57, 1.0                                // 000000007728: D1010039 0001E539
	v_rcp_f32_e32 v54, v54                                     // 000000007730: 7E6C4536
	v_rcp_f32_e32 v55, v55                                     // 000000007734: 7E6E4537
	v_rcp_f32_e32 v56, v56                                     // 000000007738: 7E704538
	v_rcp_f32_e32 v57, v57                                     // 00000000773C: 7E724539
	v_mul_f32_e32 v148, v148, v54                              // 000000007740: 0B286D94
	v_mul_f32_e32 v149, v149, v55                              // 000000007744: 0B2A6F95
	v_mul_f32_e32 v150, v150, v56                              // 000000007748: 0B2C7196
	v_mul_f32_e32 v151, v151, v57                              // 00000000774C: 0B2E7397
	buffer_load_dwordx4 a[48:51], v21, s[12:15], 0 offen       // 000000007750: E05C1000 80833015
	v_mul_f32_e32 v54, v152, v152                              // 000000007758: 0A6D3198
	v_mul_f32_e32 v55, v153, v153                              // 00000000775C: 0A6F3399
	v_mul_f32_e32 v56, v154, v154                              // 000000007760: 0A71359A
	v_mul_f32_e32 v57, v155, v155                              // 000000007764: 0A73379B
	v_fma_f32 v54, v54, s77, v5                                // 000000007768: D1CB0036 04149B36
	v_fma_f32 v55, v55, s77, v5                                // 000000007770: D1CB0037 04149B37
	v_fma_f32 v56, v56, s77, v5                                // 000000007778: D1CB0038 04149B38
	v_fma_f32 v57, v57, s77, v5                                // 000000007780: D1CB0039 04149B39
	v_mul_f32_e32 v54, v54, v152                               // 000000007788: 0A6D3136
	v_mul_f32_e32 v55, v55, v153                               // 00000000778C: 0A6F3337
	v_mul_f32_e32 v56, v56, v154                               // 000000007790: 0A713538
	v_mul_f32_e32 v57, v57, v155                               // 000000007794: 0A733739
	v_mul_f32_e64 v54, v54, s6                                 // 000000007798: D1050036 00000D36
	v_mul_f32_e64 v55, v55, s6                                 // 0000000077A0: D1050037 00000D37
	v_mul_f32_e64 v56, v56, s6                                 // 0000000077A8: D1050038 00000D38
	v_mul_f32_e64 v57, v57, s6                                 // 0000000077B0: D1050039 00000D39
	v_exp_f32_e32 v54, v54                                     // 0000000077B8: 7E6C4136
	v_exp_f32_e32 v55, v55                                     // 0000000077BC: 7E6E4137
	v_exp_f32_e32 v56, v56                                     // 0000000077C0: 7E704138
	v_exp_f32_e32 v57, v57                                     // 0000000077C4: 7E724139
	buffer_load_dwordx4 a[52:55], v21, s[12:15], 0 offen offset:1024// 0000000077C8: E05C1400 80833415
	v_add_f32_e64 v54, v54, 1.0                                // 0000000077D0: D1010036 0001E536
	v_add_f32_e64 v55, v55, 1.0                                // 0000000077D8: D1010037 0001E537
	v_add_f32_e64 v56, v56, 1.0                                // 0000000077E0: D1010038 0001E538
	v_add_f32_e64 v57, v57, 1.0                                // 0000000077E8: D1010039 0001E539
	v_rcp_f32_e32 v54, v54                                     // 0000000077F0: 7E6C4536
	v_rcp_f32_e32 v55, v55                                     // 0000000077F4: 7E6E4537
	v_rcp_f32_e32 v56, v56                                     // 0000000077F8: 7E704538
	v_rcp_f32_e32 v57, v57                                     // 0000000077FC: 7E724539
	v_mul_f32_e32 v152, v152, v54                              // 000000007800: 0B306D98
	v_mul_f32_e32 v153, v153, v55                              // 000000007804: 0B326F99
	v_mul_f32_e32 v154, v154, v56                              // 000000007808: 0B34719A
	v_mul_f32_e32 v155, v155, v57                              // 00000000780C: 0B36739B
	buffer_load_dwordx4 a[56:59], v21, s[12:15], 0 offen offset:2048// 000000007810: E05C1800 80833815
	v_mul_f32_e32 v54, v156, v156                              // 000000007818: 0A6D399C
	v_mul_f32_e32 v55, v157, v157                              // 00000000781C: 0A6F3B9D
	v_mul_f32_e32 v56, v158, v158                              // 000000007820: 0A713D9E
	v_mul_f32_e32 v57, v159, v159                              // 000000007824: 0A733F9F
	v_fma_f32 v54, v54, s77, v5                                // 000000007828: D1CB0036 04149B36
	v_fma_f32 v55, v55, s77, v5                                // 000000007830: D1CB0037 04149B37
	v_fma_f32 v56, v56, s77, v5                                // 000000007838: D1CB0038 04149B38
	v_fma_f32 v57, v57, s77, v5                                // 000000007840: D1CB0039 04149B39
	v_mul_f32_e32 v54, v54, v156                               // 000000007848: 0A6D3936
	v_mul_f32_e32 v55, v55, v157                               // 00000000784C: 0A6F3B37
	v_mul_f32_e32 v56, v56, v158                               // 000000007850: 0A713D38
	v_mul_f32_e32 v57, v57, v159                               // 000000007854: 0A733F39
	v_mul_f32_e64 v54, v54, s6                                 // 000000007858: D1050036 00000D36
	v_mul_f32_e64 v55, v55, s6                                 // 000000007860: D1050037 00000D37
	v_mul_f32_e64 v56, v56, s6                                 // 000000007868: D1050038 00000D38
	v_mul_f32_e64 v57, v57, s6                                 // 000000007870: D1050039 00000D39
	v_exp_f32_e32 v54, v54                                     // 000000007878: 7E6C4136
	v_exp_f32_e32 v55, v55                                     // 00000000787C: 7E6E4137
	v_exp_f32_e32 v56, v56                                     // 000000007880: 7E704138
	v_exp_f32_e32 v57, v57                                     // 000000007884: 7E724139
	buffer_load_dwordx4 a[60:63], v21, s[12:15], 0 offen offset:3072// 000000007888: E05C1C00 80833C15
	v_add_f32_e64 v54, v54, 1.0                                // 000000007890: D1010036 0001E536
	v_add_f32_e64 v55, v55, 1.0                                // 000000007898: D1010037 0001E537
	v_add_f32_e64 v56, v56, 1.0                                // 0000000078A0: D1010038 0001E538
	v_add_f32_e64 v57, v57, 1.0                                // 0000000078A8: D1010039 0001E539
	v_rcp_f32_e32 v54, v54                                     // 0000000078B0: 7E6C4536
	v_rcp_f32_e32 v55, v55                                     // 0000000078B4: 7E6E4537
	v_rcp_f32_e32 v56, v56                                     // 0000000078B8: 7E704538
	v_rcp_f32_e32 v57, v57                                     // 0000000078BC: 7E724539
	v_mul_f32_e32 v156, v156, v54                              // 0000000078C0: 0B386D9C
	v_mul_f32_e32 v157, v157, v55                              // 0000000078C4: 0B3A6F9D
	v_mul_f32_e32 v158, v158, v56                              // 0000000078C8: 0B3C719E
	v_mul_f32_e32 v159, v159, v57                              // 0000000078CC: 0B3E739F
	s_waitcnt vmcnt(24)                                        // 0000000078D0: BF8C4F78
	buffer_load_dwordx4 a[64:67], v22, s[12:15], 0 offen       // 0000000078D4: E05C1000 80834016
	v_mul_f32_e32 v54, v160, v160                              // 0000000078DC: 0A6D41A0
	v_mul_f32_e32 v55, v161, v161                              // 0000000078E0: 0A6F43A1
	v_mul_f32_e32 v56, v162, v162                              // 0000000078E4: 0A7145A2
	v_mul_f32_e32 v57, v163, v163                              // 0000000078E8: 0A7347A3
	v_fma_f32 v54, v54, s77, v5                                // 0000000078EC: D1CB0036 04149B36
	v_fma_f32 v55, v55, s77, v5                                // 0000000078F4: D1CB0037 04149B37
	v_fma_f32 v56, v56, s77, v5                                // 0000000078FC: D1CB0038 04149B38
	v_fma_f32 v57, v57, s77, v5                                // 000000007904: D1CB0039 04149B39
	v_mul_f32_e32 v54, v54, v160                               // 00000000790C: 0A6D4136
	v_mul_f32_e32 v55, v55, v161                               // 000000007910: 0A6F4337
	v_mul_f32_e32 v56, v56, v162                               // 000000007914: 0A714538
	v_mul_f32_e32 v57, v57, v163                               // 000000007918: 0A734739
	v_mul_f32_e64 v54, v54, s6                                 // 00000000791C: D1050036 00000D36
	v_mul_f32_e64 v55, v55, s6                                 // 000000007924: D1050037 00000D37
	v_mul_f32_e64 v56, v56, s6                                 // 00000000792C: D1050038 00000D38
	v_mul_f32_e64 v57, v57, s6                                 // 000000007934: D1050039 00000D39
	v_exp_f32_e32 v54, v54                                     // 00000000793C: 7E6C4136
	v_exp_f32_e32 v55, v55                                     // 000000007940: 7E6E4137
	v_exp_f32_e32 v56, v56                                     // 000000007944: 7E704138
	v_exp_f32_e32 v57, v57                                     // 000000007948: 7E724139
	buffer_load_dwordx4 a[68:71], v22, s[12:15], 0 offen offset:1024// 00000000794C: E05C1400 80834416
	v_add_f32_e64 v54, v54, 1.0                                // 000000007954: D1010036 0001E536
	v_add_f32_e64 v55, v55, 1.0                                // 00000000795C: D1010037 0001E537
	v_add_f32_e64 v56, v56, 1.0                                // 000000007964: D1010038 0001E538
	v_add_f32_e64 v57, v57, 1.0                                // 00000000796C: D1010039 0001E539
	v_rcp_f32_e32 v54, v54                                     // 000000007974: 7E6C4536
	v_rcp_f32_e32 v55, v55                                     // 000000007978: 7E6E4537
	v_rcp_f32_e32 v56, v56                                     // 00000000797C: 7E704538
	v_rcp_f32_e32 v57, v57                                     // 000000007980: 7E724539
	v_mul_f32_e32 v160, v160, v54                              // 000000007984: 0B406DA0
	v_mul_f32_e32 v161, v161, v55                              // 000000007988: 0B426FA1
	v_mul_f32_e32 v162, v162, v56                              // 00000000798C: 0B4471A2
	v_mul_f32_e32 v163, v163, v57                              // 000000007990: 0B4673A3
	buffer_load_dwordx4 a[72:75], v22, s[12:15], 0 offen offset:2048// 000000007994: E05C1800 80834816
	v_mul_f32_e32 v54, v164, v164                              // 00000000799C: 0A6D49A4
	v_mul_f32_e32 v55, v165, v165                              // 0000000079A0: 0A6F4BA5
	v_mul_f32_e32 v56, v166, v166                              // 0000000079A4: 0A714DA6
	v_mul_f32_e32 v57, v167, v167                              // 0000000079A8: 0A734FA7
	v_fma_f32 v54, v54, s77, v5                                // 0000000079AC: D1CB0036 04149B36
	v_fma_f32 v55, v55, s77, v5                                // 0000000079B4: D1CB0037 04149B37
	v_fma_f32 v56, v56, s77, v5                                // 0000000079BC: D1CB0038 04149B38
	v_fma_f32 v57, v57, s77, v5                                // 0000000079C4: D1CB0039 04149B39
	v_mul_f32_e32 v54, v54, v164                               // 0000000079CC: 0A6D4936
	v_mul_f32_e32 v55, v55, v165                               // 0000000079D0: 0A6F4B37
	v_mul_f32_e32 v56, v56, v166                               // 0000000079D4: 0A714D38
	v_mul_f32_e32 v57, v57, v167                               // 0000000079D8: 0A734F39
	v_mul_f32_e64 v54, v54, s6                                 // 0000000079DC: D1050036 00000D36
	v_mul_f32_e64 v55, v55, s6                                 // 0000000079E4: D1050037 00000D37
	v_mul_f32_e64 v56, v56, s6                                 // 0000000079EC: D1050038 00000D38
	v_mul_f32_e64 v57, v57, s6                                 // 0000000079F4: D1050039 00000D39
	v_exp_f32_e32 v54, v54                                     // 0000000079FC: 7E6C4136
	v_exp_f32_e32 v55, v55                                     // 000000007A00: 7E6E4137
	v_exp_f32_e32 v56, v56                                     // 000000007A04: 7E704138
	v_exp_f32_e32 v57, v57                                     // 000000007A08: 7E724139
	buffer_load_dwordx4 a[76:79], v22, s[12:15], 0 offen offset:3072// 000000007A0C: E05C1C00 80834C16
	v_add_f32_e64 v54, v54, 1.0                                // 000000007A14: D1010036 0001E536
	v_add_f32_e64 v55, v55, 1.0                                // 000000007A1C: D1010037 0001E537
	v_add_f32_e64 v56, v56, 1.0                                // 000000007A24: D1010038 0001E538
	v_add_f32_e64 v57, v57, 1.0                                // 000000007A2C: D1010039 0001E539
	v_rcp_f32_e32 v54, v54                                     // 000000007A34: 7E6C4536
	v_rcp_f32_e32 v55, v55                                     // 000000007A38: 7E6E4537
	v_rcp_f32_e32 v56, v56                                     // 000000007A3C: 7E704538
	v_rcp_f32_e32 v57, v57                                     // 000000007A40: 7E724539
	v_mul_f32_e32 v164, v164, v54                              // 000000007A44: 0B486DA4
	v_mul_f32_e32 v165, v165, v55                              // 000000007A48: 0B4A6FA5
	v_mul_f32_e32 v166, v166, v56                              // 000000007A4C: 0B4C71A6
	v_mul_f32_e32 v167, v167, v57                              // 000000007A50: 0B4E73A7
	buffer_load_dwordx4 a[80:83], v23, s[12:15], 0 offen       // 000000007A54: E05C1000 80835017
	v_mul_f32_e32 v54, v168, v168                              // 000000007A5C: 0A6D51A8
	v_mul_f32_e32 v55, v169, v169                              // 000000007A60: 0A6F53A9
	v_mul_f32_e32 v56, v170, v170                              // 000000007A64: 0A7155AA
	v_mul_f32_e32 v57, v171, v171                              // 000000007A68: 0A7357AB
	v_fma_f32 v54, v54, s77, v5                                // 000000007A6C: D1CB0036 04149B36
	v_fma_f32 v55, v55, s77, v5                                // 000000007A74: D1CB0037 04149B37
	v_fma_f32 v56, v56, s77, v5                                // 000000007A7C: D1CB0038 04149B38
	v_fma_f32 v57, v57, s77, v5                                // 000000007A84: D1CB0039 04149B39
	v_mul_f32_e32 v54, v54, v168                               // 000000007A8C: 0A6D5136
	v_mul_f32_e32 v55, v55, v169                               // 000000007A90: 0A6F5337
	v_mul_f32_e32 v56, v56, v170                               // 000000007A94: 0A715538
	v_mul_f32_e32 v57, v57, v171                               // 000000007A98: 0A735739
	v_mul_f32_e64 v54, v54, s6                                 // 000000007A9C: D1050036 00000D36
	v_mul_f32_e64 v55, v55, s6                                 // 000000007AA4: D1050037 00000D37
	v_mul_f32_e64 v56, v56, s6                                 // 000000007AAC: D1050038 00000D38
	v_mul_f32_e64 v57, v57, s6                                 // 000000007AB4: D1050039 00000D39
	v_exp_f32_e32 v54, v54                                     // 000000007ABC: 7E6C4136
	v_exp_f32_e32 v55, v55                                     // 000000007AC0: 7E6E4137
	v_exp_f32_e32 v56, v56                                     // 000000007AC4: 7E704138
	v_exp_f32_e32 v57, v57                                     // 000000007AC8: 7E724139
	buffer_load_dwordx4 a[84:87], v23, s[12:15], 0 offen offset:1024// 000000007ACC: E05C1400 80835417
	v_add_f32_e64 v54, v54, 1.0                                // 000000007AD4: D1010036 0001E536
	v_add_f32_e64 v55, v55, 1.0                                // 000000007ADC: D1010037 0001E537
	v_add_f32_e64 v56, v56, 1.0                                // 000000007AE4: D1010038 0001E538
	v_add_f32_e64 v57, v57, 1.0                                // 000000007AEC: D1010039 0001E539
	v_rcp_f32_e32 v54, v54                                     // 000000007AF4: 7E6C4536
	v_rcp_f32_e32 v55, v55                                     // 000000007AF8: 7E6E4537
	v_rcp_f32_e32 v56, v56                                     // 000000007AFC: 7E704538
	v_rcp_f32_e32 v57, v57                                     // 000000007B00: 7E724539
	v_mul_f32_e32 v168, v168, v54                              // 000000007B04: 0B506DA8
	v_mul_f32_e32 v169, v169, v55                              // 000000007B08: 0B526FA9
	v_mul_f32_e32 v170, v170, v56                              // 000000007B0C: 0B5471AA
	v_mul_f32_e32 v171, v171, v57                              // 000000007B10: 0B5673AB
	buffer_load_dwordx4 a[88:91], v23, s[12:15], 0 offen offset:2048// 000000007B14: E05C1800 80835817
	v_mul_f32_e32 v54, v172, v172                              // 000000007B1C: 0A6D59AC
	v_mul_f32_e32 v55, v173, v173                              // 000000007B20: 0A6F5BAD
	v_mul_f32_e32 v56, v174, v174                              // 000000007B24: 0A715DAE
	v_mul_f32_e32 v57, v175, v175                              // 000000007B28: 0A735FAF
	v_fma_f32 v54, v54, s77, v5                                // 000000007B2C: D1CB0036 04149B36
	v_fma_f32 v55, v55, s77, v5                                // 000000007B34: D1CB0037 04149B37
	v_fma_f32 v56, v56, s77, v5                                // 000000007B3C: D1CB0038 04149B38
	v_fma_f32 v57, v57, s77, v5                                // 000000007B44: D1CB0039 04149B39
	v_mul_f32_e32 v54, v54, v172                               // 000000007B4C: 0A6D5936
	v_mul_f32_e32 v55, v55, v173                               // 000000007B50: 0A6F5B37
	v_mul_f32_e32 v56, v56, v174                               // 000000007B54: 0A715D38
	v_mul_f32_e32 v57, v57, v175                               // 000000007B58: 0A735F39
	v_mul_f32_e64 v54, v54, s6                                 // 000000007B5C: D1050036 00000D36
	v_mul_f32_e64 v55, v55, s6                                 // 000000007B64: D1050037 00000D37
	v_mul_f32_e64 v56, v56, s6                                 // 000000007B6C: D1050038 00000D38
	v_mul_f32_e64 v57, v57, s6                                 // 000000007B74: D1050039 00000D39
	v_exp_f32_e32 v54, v54                                     // 000000007B7C: 7E6C4136
	v_exp_f32_e32 v55, v55                                     // 000000007B80: 7E6E4137
	v_exp_f32_e32 v56, v56                                     // 000000007B84: 7E704138
	v_exp_f32_e32 v57, v57                                     // 000000007B88: 7E724139
	buffer_load_dwordx4 a[92:95], v23, s[12:15], 0 offen offset:3072// 000000007B8C: E05C1C00 80835C17
	v_add_f32_e64 v54, v54, 1.0                                // 000000007B94: D1010036 0001E536
	v_add_f32_e64 v55, v55, 1.0                                // 000000007B9C: D1010037 0001E537
	v_add_f32_e64 v56, v56, 1.0                                // 000000007BA4: D1010038 0001E538
	v_add_f32_e64 v57, v57, 1.0                                // 000000007BAC: D1010039 0001E539
	v_rcp_f32_e32 v54, v54                                     // 000000007BB4: 7E6C4536
	v_rcp_f32_e32 v55, v55                                     // 000000007BB8: 7E6E4537
	v_rcp_f32_e32 v56, v56                                     // 000000007BBC: 7E704538
	v_rcp_f32_e32 v57, v57                                     // 000000007BC0: 7E724539
	v_mul_f32_e32 v172, v172, v54                              // 000000007BC4: 0B586DAC
	v_mul_f32_e32 v173, v173, v55                              // 000000007BC8: 0B5A6FAD
	v_mul_f32_e32 v174, v174, v56                              // 000000007BCC: 0B5C71AE
	v_mul_f32_e32 v175, v175, v57                              // 000000007BD0: 0B5E73AF
	s_waitcnt vmcnt(24)                                        // 000000007BD4: BF8C4F78
	buffer_load_dwordx4 a[96:99], v24, s[12:15], 0 offen       // 000000007BD8: E05C1000 80836018
	v_mul_f32_e32 v54, v176, v176                              // 000000007BE0: 0A6D61B0
	v_mul_f32_e32 v55, v177, v177                              // 000000007BE4: 0A6F63B1
	v_mul_f32_e32 v56, v178, v178                              // 000000007BE8: 0A7165B2
	v_mul_f32_e32 v57, v179, v179                              // 000000007BEC: 0A7367B3
	v_fma_f32 v54, v54, s77, v5                                // 000000007BF0: D1CB0036 04149B36
	v_fma_f32 v55, v55, s77, v5                                // 000000007BF8: D1CB0037 04149B37
	v_fma_f32 v56, v56, s77, v5                                // 000000007C00: D1CB0038 04149B38
	v_fma_f32 v57, v57, s77, v5                                // 000000007C08: D1CB0039 04149B39
	v_mul_f32_e32 v54, v54, v176                               // 000000007C10: 0A6D6136
	v_mul_f32_e32 v55, v55, v177                               // 000000007C14: 0A6F6337
	v_mul_f32_e32 v56, v56, v178                               // 000000007C18: 0A716538
	v_mul_f32_e32 v57, v57, v179                               // 000000007C1C: 0A736739
	v_mul_f32_e64 v54, v54, s6                                 // 000000007C20: D1050036 00000D36
	v_mul_f32_e64 v55, v55, s6                                 // 000000007C28: D1050037 00000D37
	v_mul_f32_e64 v56, v56, s6                                 // 000000007C30: D1050038 00000D38
	v_mul_f32_e64 v57, v57, s6                                 // 000000007C38: D1050039 00000D39
	v_exp_f32_e32 v54, v54                                     // 000000007C40: 7E6C4136
	v_exp_f32_e32 v55, v55                                     // 000000007C44: 7E6E4137
	v_exp_f32_e32 v56, v56                                     // 000000007C48: 7E704138
	v_exp_f32_e32 v57, v57                                     // 000000007C4C: 7E724139
	buffer_load_dwordx4 a[100:103], v24, s[12:15], 0 offen offset:1024// 000000007C50: E05C1400 80836418
	v_add_f32_e64 v54, v54, 1.0                                // 000000007C58: D1010036 0001E536
	v_add_f32_e64 v55, v55, 1.0                                // 000000007C60: D1010037 0001E537
	v_add_f32_e64 v56, v56, 1.0                                // 000000007C68: D1010038 0001E538
	v_add_f32_e64 v57, v57, 1.0                                // 000000007C70: D1010039 0001E539
	v_rcp_f32_e32 v54, v54                                     // 000000007C78: 7E6C4536
	v_rcp_f32_e32 v55, v55                                     // 000000007C7C: 7E6E4537
	v_rcp_f32_e32 v56, v56                                     // 000000007C80: 7E704538
	v_rcp_f32_e32 v57, v57                                     // 000000007C84: 7E724539
	v_mul_f32_e32 v176, v176, v54                              // 000000007C88: 0B606DB0
	v_mul_f32_e32 v177, v177, v55                              // 000000007C8C: 0B626FB1
	v_mul_f32_e32 v178, v178, v56                              // 000000007C90: 0B6471B2
	v_mul_f32_e32 v179, v179, v57                              // 000000007C94: 0B6673B3
	buffer_load_dwordx4 a[104:107], v24, s[12:15], 0 offen offset:2048// 000000007C98: E05C1800 80836818
	v_mul_f32_e32 v54, v180, v180                              // 000000007CA0: 0A6D69B4
	v_mul_f32_e32 v55, v181, v181                              // 000000007CA4: 0A6F6BB5
	v_mul_f32_e32 v56, v182, v182                              // 000000007CA8: 0A716DB6
	v_mul_f32_e32 v57, v183, v183                              // 000000007CAC: 0A736FB7
	v_fma_f32 v54, v54, s77, v5                                // 000000007CB0: D1CB0036 04149B36
	v_fma_f32 v55, v55, s77, v5                                // 000000007CB8: D1CB0037 04149B37
	v_fma_f32 v56, v56, s77, v5                                // 000000007CC0: D1CB0038 04149B38
	v_fma_f32 v57, v57, s77, v5                                // 000000007CC8: D1CB0039 04149B39
	v_mul_f32_e32 v54, v54, v180                               // 000000007CD0: 0A6D6936
	v_mul_f32_e32 v55, v55, v181                               // 000000007CD4: 0A6F6B37
	v_mul_f32_e32 v56, v56, v182                               // 000000007CD8: 0A716D38
	v_mul_f32_e32 v57, v57, v183                               // 000000007CDC: 0A736F39
	v_mul_f32_e64 v54, v54, s6                                 // 000000007CE0: D1050036 00000D36
	v_mul_f32_e64 v55, v55, s6                                 // 000000007CE8: D1050037 00000D37
	v_mul_f32_e64 v56, v56, s6                                 // 000000007CF0: D1050038 00000D38
	v_mul_f32_e64 v57, v57, s6                                 // 000000007CF8: D1050039 00000D39
	v_exp_f32_e32 v54, v54                                     // 000000007D00: 7E6C4136
	v_exp_f32_e32 v55, v55                                     // 000000007D04: 7E6E4137
	v_exp_f32_e32 v56, v56                                     // 000000007D08: 7E704138
	v_exp_f32_e32 v57, v57                                     // 000000007D0C: 7E724139
	buffer_load_dwordx4 a[108:111], v24, s[12:15], 0 offen offset:3072// 000000007D10: E05C1C00 80836C18
	v_add_f32_e64 v54, v54, 1.0                                // 000000007D18: D1010036 0001E536
	v_add_f32_e64 v55, v55, 1.0                                // 000000007D20: D1010037 0001E537
	v_add_f32_e64 v56, v56, 1.0                                // 000000007D28: D1010038 0001E538
	v_add_f32_e64 v57, v57, 1.0                                // 000000007D30: D1010039 0001E539
	v_rcp_f32_e32 v54, v54                                     // 000000007D38: 7E6C4536
	v_rcp_f32_e32 v55, v55                                     // 000000007D3C: 7E6E4537
	v_rcp_f32_e32 v56, v56                                     // 000000007D40: 7E704538
	v_rcp_f32_e32 v57, v57                                     // 000000007D44: 7E724539
	v_mul_f32_e32 v180, v180, v54                              // 000000007D48: 0B686DB4
	v_mul_f32_e32 v181, v181, v55                              // 000000007D4C: 0B6A6FB5
	v_mul_f32_e32 v182, v182, v56                              // 000000007D50: 0B6C71B6
	v_mul_f32_e32 v183, v183, v57                              // 000000007D54: 0B6E73B7
	buffer_load_dwordx4 a[112:115], v25, s[12:15], 0 offen     // 000000007D58: E05C1000 80837019
	v_mul_f32_e32 v54, v184, v184                              // 000000007D60: 0A6D71B8
	v_mul_f32_e32 v55, v185, v185                              // 000000007D64: 0A6F73B9
	v_mul_f32_e32 v56, v186, v186                              // 000000007D68: 0A7175BA
	v_mul_f32_e32 v57, v187, v187                              // 000000007D6C: 0A7377BB
	v_fma_f32 v54, v54, s77, v5                                // 000000007D70: D1CB0036 04149B36
	v_fma_f32 v55, v55, s77, v5                                // 000000007D78: D1CB0037 04149B37
	v_fma_f32 v56, v56, s77, v5                                // 000000007D80: D1CB0038 04149B38
	v_fma_f32 v57, v57, s77, v5                                // 000000007D88: D1CB0039 04149B39
	v_mul_f32_e32 v54, v54, v184                               // 000000007D90: 0A6D7136
	v_mul_f32_e32 v55, v55, v185                               // 000000007D94: 0A6F7337
	v_mul_f32_e32 v56, v56, v186                               // 000000007D98: 0A717538
	v_mul_f32_e32 v57, v57, v187                               // 000000007D9C: 0A737739
	v_mul_f32_e64 v54, v54, s6                                 // 000000007DA0: D1050036 00000D36
	v_mul_f32_e64 v55, v55, s6                                 // 000000007DA8: D1050037 00000D37
	v_mul_f32_e64 v56, v56, s6                                 // 000000007DB0: D1050038 00000D38
	v_mul_f32_e64 v57, v57, s6                                 // 000000007DB8: D1050039 00000D39
	v_exp_f32_e32 v54, v54                                     // 000000007DC0: 7E6C4136
	v_exp_f32_e32 v55, v55                                     // 000000007DC4: 7E6E4137
	v_exp_f32_e32 v56, v56                                     // 000000007DC8: 7E704138
	v_exp_f32_e32 v57, v57                                     // 000000007DCC: 7E724139
	buffer_load_dwordx4 a[116:119], v25, s[12:15], 0 offen offset:1024// 000000007DD0: E05C1400 80837419
	v_add_f32_e64 v54, v54, 1.0                                // 000000007DD8: D1010036 0001E536
	v_add_f32_e64 v55, v55, 1.0                                // 000000007DE0: D1010037 0001E537
	v_add_f32_e64 v56, v56, 1.0                                // 000000007DE8: D1010038 0001E538
	v_add_f32_e64 v57, v57, 1.0                                // 000000007DF0: D1010039 0001E539
	v_rcp_f32_e32 v54, v54                                     // 000000007DF8: 7E6C4536
	v_rcp_f32_e32 v55, v55                                     // 000000007DFC: 7E6E4537
	v_rcp_f32_e32 v56, v56                                     // 000000007E00: 7E704538
	v_rcp_f32_e32 v57, v57                                     // 000000007E04: 7E724539
	v_mul_f32_e32 v184, v184, v54                              // 000000007E08: 0B706DB8
	v_mul_f32_e32 v185, v185, v55                              // 000000007E0C: 0B726FB9
	v_mul_f32_e32 v186, v186, v56                              // 000000007E10: 0B7471BA
	v_mul_f32_e32 v187, v187, v57                              // 000000007E14: 0B7673BB
	buffer_load_dwordx4 a[120:123], v25, s[12:15], 0 offen offset:2048// 000000007E18: E05C1800 80837819
	v_mul_f32_e32 v54, v188, v188                              // 000000007E20: 0A6D79BC
	v_mul_f32_e32 v55, v189, v189                              // 000000007E24: 0A6F7BBD
	v_mul_f32_e32 v56, v190, v190                              // 000000007E28: 0A717DBE
	v_mul_f32_e32 v57, v191, v191                              // 000000007E2C: 0A737FBF
	v_fma_f32 v54, v54, s77, v5                                // 000000007E30: D1CB0036 04149B36
	v_fma_f32 v55, v55, s77, v5                                // 000000007E38: D1CB0037 04149B37
	v_fma_f32 v56, v56, s77, v5                                // 000000007E40: D1CB0038 04149B38
	v_fma_f32 v57, v57, s77, v5                                // 000000007E48: D1CB0039 04149B39
	v_mul_f32_e32 v54, v54, v188                               // 000000007E50: 0A6D7936
	v_mul_f32_e32 v55, v55, v189                               // 000000007E54: 0A6F7B37
	v_mul_f32_e32 v56, v56, v190                               // 000000007E58: 0A717D38
	v_mul_f32_e32 v57, v57, v191                               // 000000007E5C: 0A737F39
	v_mul_f32_e64 v54, v54, s6                                 // 000000007E60: D1050036 00000D36
	v_mul_f32_e64 v55, v55, s6                                 // 000000007E68: D1050037 00000D37
	v_mul_f32_e64 v56, v56, s6                                 // 000000007E70: D1050038 00000D38
	v_mul_f32_e64 v57, v57, s6                                 // 000000007E78: D1050039 00000D39
	v_exp_f32_e32 v54, v54                                     // 000000007E80: 7E6C4136
	v_exp_f32_e32 v55, v55                                     // 000000007E84: 7E6E4137
	v_exp_f32_e32 v56, v56                                     // 000000007E88: 7E704138
	v_exp_f32_e32 v57, v57                                     // 000000007E8C: 7E724139
	buffer_load_dwordx4 a[124:127], v25, s[12:15], 0 offen offset:3072// 000000007E90: E05C1C00 80837C19
	v_add_f32_e64 v54, v54, 1.0                                // 000000007E98: D1010036 0001E536
	v_add_f32_e64 v55, v55, 1.0                                // 000000007EA0: D1010037 0001E537
	v_add_f32_e64 v56, v56, 1.0                                // 000000007EA8: D1010038 0001E538
	v_add_f32_e64 v57, v57, 1.0                                // 000000007EB0: D1010039 0001E539
	v_rcp_f32_e32 v54, v54                                     // 000000007EB8: 7E6C4536
	v_rcp_f32_e32 v55, v55                                     // 000000007EBC: 7E6E4537
	v_rcp_f32_e32 v56, v56                                     // 000000007EC0: 7E704538
	v_rcp_f32_e32 v57, v57                                     // 000000007EC4: 7E724539
	v_mul_f32_e32 v188, v188, v54                              // 000000007EC8: 0B786DBC
	v_mul_f32_e32 v189, v189, v55                              // 000000007ECC: 0B7A6FBD
	v_mul_f32_e32 v190, v190, v56                              // 000000007ED0: 0B7C71BE
	v_mul_f32_e32 v191, v191, v57                              // 000000007ED4: 0B7E73BF
	v_cmp_u_f32_e64 s[34:35], v128, v128                       // 000000007ED8: D0480022 00030180
	v_add3_u32 v50, v128, v53, 1                               // 000000007EE0: D1FF0032 02066B80
	v_cndmask_b32_e64 v54, v50, v52, s[34:35]                  // 000000007EE8: D1000036 008A6932
	v_cmp_u_f32_e64 s[34:35], v129, v129                       // 000000007EF0: D0480022 00030381
	v_add3_u32 v50, v129, v53, 1                               // 000000007EF8: D1FF0032 02066B81
	v_cndmask_b32_e64 v55, v50, v52, s[34:35]                  // 000000007F00: D1000037 008A6932
	v_perm_b32 v128, v55, v54, s52                             // 000000007F08: D1ED0080 00D26D37
	v_cmp_u_f32_e64 s[34:35], v130, v130                       // 000000007F10: D0480022 00030582
	v_add3_u32 v50, v130, v53, 1                               // 000000007F18: D1FF0032 02066B82
	v_cndmask_b32_e64 v54, v50, v52, s[34:35]                  // 000000007F20: D1000036 008A6932
	v_cmp_u_f32_e64 s[34:35], v131, v131                       // 000000007F28: D0480022 00030783
	v_add3_u32 v50, v131, v53, 1                               // 000000007F30: D1FF0032 02066B83
	v_cndmask_b32_e64 v55, v50, v52, s[34:35]                  // 000000007F38: D1000037 008A6932
	v_perm_b32 v129, v55, v54, s52                             // 000000007F40: D1ED0081 00D26D37
	v_cmp_u_f32_e64 s[34:35], v132, v132                       // 000000007F48: D0480022 00030984
	v_add3_u32 v50, v132, v53, 1                               // 000000007F50: D1FF0032 02066B84
	v_cndmask_b32_e64 v54, v50, v52, s[34:35]                  // 000000007F58: D1000036 008A6932
	v_cmp_u_f32_e64 s[34:35], v133, v133                       // 000000007F60: D0480022 00030B85
	v_add3_u32 v50, v133, v53, 1                               // 000000007F68: D1FF0032 02066B85
	v_cndmask_b32_e64 v55, v50, v52, s[34:35]                  // 000000007F70: D1000037 008A6932
	v_perm_b32 v130, v55, v54, s52                             // 000000007F78: D1ED0082 00D26D37
	v_cmp_u_f32_e64 s[34:35], v134, v134                       // 000000007F80: D0480022 00030D86
	v_add3_u32 v50, v134, v53, 1                               // 000000007F88: D1FF0032 02066B86
	v_cndmask_b32_e64 v54, v50, v52, s[34:35]                  // 000000007F90: D1000036 008A6932
	v_cmp_u_f32_e64 s[34:35], v135, v135                       // 000000007F98: D0480022 00030F87
	v_add3_u32 v50, v135, v53, 1                               // 000000007FA0: D1FF0032 02066B87
	v_cndmask_b32_e64 v55, v50, v52, s[34:35]                  // 000000007FA8: D1000037 008A6932
	v_perm_b32 v131, v55, v54, s52                             // 000000007FB0: D1ED0083 00D26D37
	v_cmp_u_f32_e64 s[34:35], v136, v136                       // 000000007FB8: D0480022 00031188
	v_add3_u32 v50, v136, v53, 1                               // 000000007FC0: D1FF0032 02066B88
	v_cndmask_b32_e64 v54, v50, v52, s[34:35]                  // 000000007FC8: D1000036 008A6932
	v_cmp_u_f32_e64 s[34:35], v137, v137                       // 000000007FD0: D0480022 00031389
	v_add3_u32 v50, v137, v53, 1                               // 000000007FD8: D1FF0032 02066B89
	v_cndmask_b32_e64 v55, v50, v52, s[34:35]                  // 000000007FE0: D1000037 008A6932
	v_perm_b32 v132, v55, v54, s52                             // 000000007FE8: D1ED0084 00D26D37
	v_cmp_u_f32_e64 s[34:35], v138, v138                       // 000000007FF0: D0480022 0003158A
	v_add3_u32 v50, v138, v53, 1                               // 000000007FF8: D1FF0032 02066B8A
	v_cndmask_b32_e64 v54, v50, v52, s[34:35]                  // 000000008000: D1000036 008A6932
	v_cmp_u_f32_e64 s[34:35], v139, v139                       // 000000008008: D0480022 0003178B
	v_add3_u32 v50, v139, v53, 1                               // 000000008010: D1FF0032 02066B8B
	v_cndmask_b32_e64 v55, v50, v52, s[34:35]                  // 000000008018: D1000037 008A6932
	v_perm_b32 v133, v55, v54, s52                             // 000000008020: D1ED0085 00D26D37
	v_cmp_u_f32_e64 s[34:35], v140, v140                       // 000000008028: D0480022 0003198C
	v_add3_u32 v50, v140, v53, 1                               // 000000008030: D1FF0032 02066B8C
	v_cndmask_b32_e64 v54, v50, v52, s[34:35]                  // 000000008038: D1000036 008A6932
	v_cmp_u_f32_e64 s[34:35], v141, v141                       // 000000008040: D0480022 00031B8D
	v_add3_u32 v50, v141, v53, 1                               // 000000008048: D1FF0032 02066B8D
	v_cndmask_b32_e64 v55, v50, v52, s[34:35]                  // 000000008050: D1000037 008A6932
	v_perm_b32 v134, v55, v54, s52                             // 000000008058: D1ED0086 00D26D37
	v_cmp_u_f32_e64 s[34:35], v142, v142                       // 000000008060: D0480022 00031D8E
	v_add3_u32 v50, v142, v53, 1                               // 000000008068: D1FF0032 02066B8E
	v_cndmask_b32_e64 v54, v50, v52, s[34:35]                  // 000000008070: D1000036 008A6932
	v_cmp_u_f32_e64 s[34:35], v143, v143                       // 000000008078: D0480022 00031F8F
	v_add3_u32 v50, v143, v53, 1                               // 000000008080: D1FF0032 02066B8F
	v_cndmask_b32_e64 v55, v50, v52, s[34:35]                  // 000000008088: D1000037 008A6932
	v_perm_b32 v135, v55, v54, s52                             // 000000008090: D1ED0087 00D26D37
	v_cmp_u_f32_e64 s[34:35], v144, v144                       // 000000008098: D0480022 00032190
	v_add3_u32 v50, v144, v53, 1                               // 0000000080A0: D1FF0032 02066B90
	v_cndmask_b32_e64 v54, v50, v52, s[34:35]                  // 0000000080A8: D1000036 008A6932
	v_cmp_u_f32_e64 s[34:35], v145, v145                       // 0000000080B0: D0480022 00032391
	v_add3_u32 v50, v145, v53, 1                               // 0000000080B8: D1FF0032 02066B91
	v_cndmask_b32_e64 v55, v50, v52, s[34:35]                  // 0000000080C0: D1000037 008A6932
	v_perm_b32 v136, v55, v54, s52                             // 0000000080C8: D1ED0088 00D26D37
	v_cmp_u_f32_e64 s[34:35], v146, v146                       // 0000000080D0: D0480022 00032592
	v_add3_u32 v50, v146, v53, 1                               // 0000000080D8: D1FF0032 02066B92
	v_cndmask_b32_e64 v54, v50, v52, s[34:35]                  // 0000000080E0: D1000036 008A6932
	v_cmp_u_f32_e64 s[34:35], v147, v147                       // 0000000080E8: D0480022 00032793
	v_add3_u32 v50, v147, v53, 1                               // 0000000080F0: D1FF0032 02066B93
	v_cndmask_b32_e64 v55, v50, v52, s[34:35]                  // 0000000080F8: D1000037 008A6932
	v_perm_b32 v137, v55, v54, s52                             // 000000008100: D1ED0089 00D26D37
	v_cmp_u_f32_e64 s[34:35], v148, v148                       // 000000008108: D0480022 00032994
	v_add3_u32 v50, v148, v53, 1                               // 000000008110: D1FF0032 02066B94
	v_cndmask_b32_e64 v54, v50, v52, s[34:35]                  // 000000008118: D1000036 008A6932
	v_cmp_u_f32_e64 s[34:35], v149, v149                       // 000000008120: D0480022 00032B95
	v_add3_u32 v50, v149, v53, 1                               // 000000008128: D1FF0032 02066B95
	v_cndmask_b32_e64 v55, v50, v52, s[34:35]                  // 000000008130: D1000037 008A6932
	v_perm_b32 v138, v55, v54, s52                             // 000000008138: D1ED008A 00D26D37
	v_cmp_u_f32_e64 s[34:35], v150, v150                       // 000000008140: D0480022 00032D96
	v_add3_u32 v50, v150, v53, 1                               // 000000008148: D1FF0032 02066B96
	v_cndmask_b32_e64 v54, v50, v52, s[34:35]                  // 000000008150: D1000036 008A6932
	v_cmp_u_f32_e64 s[34:35], v151, v151                       // 000000008158: D0480022 00032F97
	v_add3_u32 v50, v151, v53, 1                               // 000000008160: D1FF0032 02066B97
	v_cndmask_b32_e64 v55, v50, v52, s[34:35]                  // 000000008168: D1000037 008A6932
	v_perm_b32 v139, v55, v54, s52                             // 000000008170: D1ED008B 00D26D37
	v_cmp_u_f32_e64 s[34:35], v152, v152                       // 000000008178: D0480022 00033198
	v_add3_u32 v50, v152, v53, 1                               // 000000008180: D1FF0032 02066B98
	v_cndmask_b32_e64 v54, v50, v52, s[34:35]                  // 000000008188: D1000036 008A6932
	v_cmp_u_f32_e64 s[34:35], v153, v153                       // 000000008190: D0480022 00033399
	v_add3_u32 v50, v153, v53, 1                               // 000000008198: D1FF0032 02066B99
	v_cndmask_b32_e64 v55, v50, v52, s[34:35]                  // 0000000081A0: D1000037 008A6932
	v_perm_b32 v140, v55, v54, s52                             // 0000000081A8: D1ED008C 00D26D37
	v_cmp_u_f32_e64 s[34:35], v154, v154                       // 0000000081B0: D0480022 0003359A
	v_add3_u32 v50, v154, v53, 1                               // 0000000081B8: D1FF0032 02066B9A
	v_cndmask_b32_e64 v54, v50, v52, s[34:35]                  // 0000000081C0: D1000036 008A6932
	v_cmp_u_f32_e64 s[34:35], v155, v155                       // 0000000081C8: D0480022 0003379B
	v_add3_u32 v50, v155, v53, 1                               // 0000000081D0: D1FF0032 02066B9B
	v_cndmask_b32_e64 v55, v50, v52, s[34:35]                  // 0000000081D8: D1000037 008A6932
	v_perm_b32 v141, v55, v54, s52                             // 0000000081E0: D1ED008D 00D26D37
	v_cmp_u_f32_e64 s[34:35], v156, v156                       // 0000000081E8: D0480022 0003399C
	v_add3_u32 v50, v156, v53, 1                               // 0000000081F0: D1FF0032 02066B9C
	v_cndmask_b32_e64 v54, v50, v52, s[34:35]                  // 0000000081F8: D1000036 008A6932
	v_cmp_u_f32_e64 s[34:35], v157, v157                       // 000000008200: D0480022 00033B9D
	v_add3_u32 v50, v157, v53, 1                               // 000000008208: D1FF0032 02066B9D
	v_cndmask_b32_e64 v55, v50, v52, s[34:35]                  // 000000008210: D1000037 008A6932
	v_perm_b32 v142, v55, v54, s52                             // 000000008218: D1ED008E 00D26D37
	v_cmp_u_f32_e64 s[34:35], v158, v158                       // 000000008220: D0480022 00033D9E
	v_add3_u32 v50, v158, v53, 1                               // 000000008228: D1FF0032 02066B9E
	v_cndmask_b32_e64 v54, v50, v52, s[34:35]                  // 000000008230: D1000036 008A6932
	v_cmp_u_f32_e64 s[34:35], v159, v159                       // 000000008238: D0480022 00033F9F
	v_add3_u32 v50, v159, v53, 1                               // 000000008240: D1FF0032 02066B9F
	v_cndmask_b32_e64 v55, v50, v52, s[34:35]                  // 000000008248: D1000037 008A6932
	v_perm_b32 v143, v55, v54, s52                             // 000000008250: D1ED008F 00D26D37
	v_cmp_u_f32_e64 s[34:35], v160, v160                       // 000000008258: D0480022 000341A0
	v_add3_u32 v50, v160, v53, 1                               // 000000008260: D1FF0032 02066BA0
	v_cndmask_b32_e64 v54, v50, v52, s[34:35]                  // 000000008268: D1000036 008A6932
	v_cmp_u_f32_e64 s[34:35], v161, v161                       // 000000008270: D0480022 000343A1
	v_add3_u32 v50, v161, v53, 1                               // 000000008278: D1FF0032 02066BA1
	v_cndmask_b32_e64 v55, v50, v52, s[34:35]                  // 000000008280: D1000037 008A6932
	v_perm_b32 v144, v55, v54, s52                             // 000000008288: D1ED0090 00D26D37
	v_cmp_u_f32_e64 s[34:35], v162, v162                       // 000000008290: D0480022 000345A2
	v_add3_u32 v50, v162, v53, 1                               // 000000008298: D1FF0032 02066BA2
	v_cndmask_b32_e64 v54, v50, v52, s[34:35]                  // 0000000082A0: D1000036 008A6932
	v_cmp_u_f32_e64 s[34:35], v163, v163                       // 0000000082A8: D0480022 000347A3
	v_add3_u32 v50, v163, v53, 1                               // 0000000082B0: D1FF0032 02066BA3
	v_cndmask_b32_e64 v55, v50, v52, s[34:35]                  // 0000000082B8: D1000037 008A6932
	v_perm_b32 v145, v55, v54, s52                             // 0000000082C0: D1ED0091 00D26D37
	v_cmp_u_f32_e64 s[34:35], v164, v164                       // 0000000082C8: D0480022 000349A4
	v_add3_u32 v50, v164, v53, 1                               // 0000000082D0: D1FF0032 02066BA4
	v_cndmask_b32_e64 v54, v50, v52, s[34:35]                  // 0000000082D8: D1000036 008A6932
	v_cmp_u_f32_e64 s[34:35], v165, v165                       // 0000000082E0: D0480022 00034BA5
	v_add3_u32 v50, v165, v53, 1                               // 0000000082E8: D1FF0032 02066BA5
	v_cndmask_b32_e64 v55, v50, v52, s[34:35]                  // 0000000082F0: D1000037 008A6932
	v_perm_b32 v146, v55, v54, s52                             // 0000000082F8: D1ED0092 00D26D37
	v_cmp_u_f32_e64 s[34:35], v166, v166                       // 000000008300: D0480022 00034DA6
	v_add3_u32 v50, v166, v53, 1                               // 000000008308: D1FF0032 02066BA6
	v_cndmask_b32_e64 v54, v50, v52, s[34:35]                  // 000000008310: D1000036 008A6932
	v_cmp_u_f32_e64 s[34:35], v167, v167                       // 000000008318: D0480022 00034FA7
	v_add3_u32 v50, v167, v53, 1                               // 000000008320: D1FF0032 02066BA7
	v_cndmask_b32_e64 v55, v50, v52, s[34:35]                  // 000000008328: D1000037 008A6932
	v_perm_b32 v147, v55, v54, s52                             // 000000008330: D1ED0093 00D26D37
	v_cmp_u_f32_e64 s[34:35], v168, v168                       // 000000008338: D0480022 000351A8
	v_add3_u32 v50, v168, v53, 1                               // 000000008340: D1FF0032 02066BA8
	v_cndmask_b32_e64 v54, v50, v52, s[34:35]                  // 000000008348: D1000036 008A6932
	v_cmp_u_f32_e64 s[34:35], v169, v169                       // 000000008350: D0480022 000353A9
	v_add3_u32 v50, v169, v53, 1                               // 000000008358: D1FF0032 02066BA9
	v_cndmask_b32_e64 v55, v50, v52, s[34:35]                  // 000000008360: D1000037 008A6932
	v_perm_b32 v148, v55, v54, s52                             // 000000008368: D1ED0094 00D26D37
	v_cmp_u_f32_e64 s[34:35], v170, v170                       // 000000008370: D0480022 000355AA
	v_add3_u32 v50, v170, v53, 1                               // 000000008378: D1FF0032 02066BAA
	v_cndmask_b32_e64 v54, v50, v52, s[34:35]                  // 000000008380: D1000036 008A6932
	v_cmp_u_f32_e64 s[34:35], v171, v171                       // 000000008388: D0480022 000357AB
	v_add3_u32 v50, v171, v53, 1                               // 000000008390: D1FF0032 02066BAB
	v_cndmask_b32_e64 v55, v50, v52, s[34:35]                  // 000000008398: D1000037 008A6932
	v_perm_b32 v149, v55, v54, s52                             // 0000000083A0: D1ED0095 00D26D37
	v_cmp_u_f32_e64 s[34:35], v172, v172                       // 0000000083A8: D0480022 000359AC
	v_add3_u32 v50, v172, v53, 1                               // 0000000083B0: D1FF0032 02066BAC
	v_cndmask_b32_e64 v54, v50, v52, s[34:35]                  // 0000000083B8: D1000036 008A6932
	v_cmp_u_f32_e64 s[34:35], v173, v173                       // 0000000083C0: D0480022 00035BAD
	v_add3_u32 v50, v173, v53, 1                               // 0000000083C8: D1FF0032 02066BAD
	v_cndmask_b32_e64 v55, v50, v52, s[34:35]                  // 0000000083D0: D1000037 008A6932
	v_perm_b32 v150, v55, v54, s52                             // 0000000083D8: D1ED0096 00D26D37
	v_cmp_u_f32_e64 s[34:35], v174, v174                       // 0000000083E0: D0480022 00035DAE
	v_add3_u32 v50, v174, v53, 1                               // 0000000083E8: D1FF0032 02066BAE
	v_cndmask_b32_e64 v54, v50, v52, s[34:35]                  // 0000000083F0: D1000036 008A6932
	v_cmp_u_f32_e64 s[34:35], v175, v175                       // 0000000083F8: D0480022 00035FAF
	v_add3_u32 v50, v175, v53, 1                               // 000000008400: D1FF0032 02066BAF
	v_cndmask_b32_e64 v55, v50, v52, s[34:35]                  // 000000008408: D1000037 008A6932
	v_perm_b32 v151, v55, v54, s52                             // 000000008410: D1ED0097 00D26D37
	v_cmp_u_f32_e64 s[34:35], v176, v176                       // 000000008418: D0480022 000361B0
	v_add3_u32 v50, v176, v53, 1                               // 000000008420: D1FF0032 02066BB0
	v_cndmask_b32_e64 v54, v50, v52, s[34:35]                  // 000000008428: D1000036 008A6932
	v_cmp_u_f32_e64 s[34:35], v177, v177                       // 000000008430: D0480022 000363B1
	v_add3_u32 v50, v177, v53, 1                               // 000000008438: D1FF0032 02066BB1
	v_cndmask_b32_e64 v55, v50, v52, s[34:35]                  // 000000008440: D1000037 008A6932
	v_perm_b32 v152, v55, v54, s52                             // 000000008448: D1ED0098 00D26D37
	v_cmp_u_f32_e64 s[34:35], v178, v178                       // 000000008450: D0480022 000365B2
	v_add3_u32 v50, v178, v53, 1                               // 000000008458: D1FF0032 02066BB2
	v_cndmask_b32_e64 v54, v50, v52, s[34:35]                  // 000000008460: D1000036 008A6932
	v_cmp_u_f32_e64 s[34:35], v179, v179                       // 000000008468: D0480022 000367B3
	v_add3_u32 v50, v179, v53, 1                               // 000000008470: D1FF0032 02066BB3
	v_cndmask_b32_e64 v55, v50, v52, s[34:35]                  // 000000008478: D1000037 008A6932
	v_perm_b32 v153, v55, v54, s52                             // 000000008480: D1ED0099 00D26D37
	v_cmp_u_f32_e64 s[34:35], v180, v180                       // 000000008488: D0480022 000369B4
	v_add3_u32 v50, v180, v53, 1                               // 000000008490: D1FF0032 02066BB4
	v_cndmask_b32_e64 v54, v50, v52, s[34:35]                  // 000000008498: D1000036 008A6932
	v_cmp_u_f32_e64 s[34:35], v181, v181                       // 0000000084A0: D0480022 00036BB5
	v_add3_u32 v50, v181, v53, 1                               // 0000000084A8: D1FF0032 02066BB5
	v_cndmask_b32_e64 v55, v50, v52, s[34:35]                  // 0000000084B0: D1000037 008A6932
	v_perm_b32 v154, v55, v54, s52                             // 0000000084B8: D1ED009A 00D26D37
	v_cmp_u_f32_e64 s[34:35], v182, v182                       // 0000000084C0: D0480022 00036DB6
	v_add3_u32 v50, v182, v53, 1                               // 0000000084C8: D1FF0032 02066BB6
	v_cndmask_b32_e64 v54, v50, v52, s[34:35]                  // 0000000084D0: D1000036 008A6932
	v_cmp_u_f32_e64 s[34:35], v183, v183                       // 0000000084D8: D0480022 00036FB7
	v_add3_u32 v50, v183, v53, 1                               // 0000000084E0: D1FF0032 02066BB7
	v_cndmask_b32_e64 v55, v50, v52, s[34:35]                  // 0000000084E8: D1000037 008A6932
	v_perm_b32 v155, v55, v54, s52                             // 0000000084F0: D1ED009B 00D26D37
	v_cmp_u_f32_e64 s[34:35], v184, v184                       // 0000000084F8: D0480022 000371B8
	v_add3_u32 v50, v184, v53, 1                               // 000000008500: D1FF0032 02066BB8
	v_cndmask_b32_e64 v54, v50, v52, s[34:35]                  // 000000008508: D1000036 008A6932
	v_cmp_u_f32_e64 s[34:35], v185, v185                       // 000000008510: D0480022 000373B9
	v_add3_u32 v50, v185, v53, 1                               // 000000008518: D1FF0032 02066BB9
	v_cndmask_b32_e64 v55, v50, v52, s[34:35]                  // 000000008520: D1000037 008A6932
	v_perm_b32 v156, v55, v54, s52                             // 000000008528: D1ED009C 00D26D37
	v_cmp_u_f32_e64 s[34:35], v186, v186                       // 000000008530: D0480022 000375BA
	v_add3_u32 v50, v186, v53, 1                               // 000000008538: D1FF0032 02066BBA
	v_cndmask_b32_e64 v54, v50, v52, s[34:35]                  // 000000008540: D1000036 008A6932
	v_cmp_u_f32_e64 s[34:35], v187, v187                       // 000000008548: D0480022 000377BB
	v_add3_u32 v50, v187, v53, 1                               // 000000008550: D1FF0032 02066BBB
	v_cndmask_b32_e64 v55, v50, v52, s[34:35]                  // 000000008558: D1000037 008A6932
	v_perm_b32 v157, v55, v54, s52                             // 000000008560: D1ED009D 00D26D37
	v_cmp_u_f32_e64 s[34:35], v188, v188                       // 000000008568: D0480022 000379BC
	v_add3_u32 v50, v188, v53, 1                               // 000000008570: D1FF0032 02066BBC
	v_cndmask_b32_e64 v54, v50, v52, s[34:35]                  // 000000008578: D1000036 008A6932
	v_cmp_u_f32_e64 s[34:35], v189, v189                       // 000000008580: D0480022 00037BBD
	v_add3_u32 v50, v189, v53, 1                               // 000000008588: D1FF0032 02066BBD
	v_cndmask_b32_e64 v55, v50, v52, s[34:35]                  // 000000008590: D1000037 008A6932
	v_perm_b32 v158, v55, v54, s52                             // 000000008598: D1ED009E 00D26D37
	v_cmp_u_f32_e64 s[34:35], v190, v190                       // 0000000085A0: D0480022 00037DBE
	v_add3_u32 v50, v190, v53, 1                               // 0000000085A8: D1FF0032 02066BBE
	v_cndmask_b32_e64 v54, v50, v52, s[34:35]                  // 0000000085B0: D1000036 008A6932
	v_cmp_u_f32_e64 s[34:35], v191, v191                       // 0000000085B8: D0480022 00037FBF
	v_add3_u32 v50, v191, v53, 1                               // 0000000085C0: D1FF0032 02066BBF
	v_cndmask_b32_e64 v55, v50, v52, s[34:35]                  // 0000000085C8: D1000037 008A6932
	v_perm_b32 v159, v55, v54, s52                             // 0000000085D0: D1ED009F 00D26D37
	v_lshlrev_b32_e32 v54, 3, v0                               // 0000000085D8: 246C0083
	s_mul_i32 s60, 0x200, s7                                   // 0000000085DC: 923C07FF 00000200
	v_add_u32_e64 v54, v54, s60                                // 0000000085E4: D1340036 00007936
	ds_write_b64 v54, v[128:129] offset:16640                  // 0000000085EC: D89A4100 00008036
	ds_write_b64 v54, v[130:131] offset:33024                  // 0000000085F4: D89A8100 00008236
	ds_write_b64 v54, v[132:133] offset:18688                  // 0000000085FC: D89A4900 00008436
	ds_write_b64 v54, v[134:135] offset:35072                  // 000000008604: D89A8900 00008636
	ds_write_b64 v54, v[136:137] offset:20736                  // 00000000860C: D89A5100 00008836
	ds_write_b64 v54, v[138:139] offset:37120                  // 000000008614: D89A9100 00008A36
	ds_write_b64 v54, v[140:141] offset:22784                  // 00000000861C: D89A5900 00008C36
	ds_write_b64 v54, v[142:143] offset:39168                  // 000000008624: D89A9900 00008E36
	ds_write_b64 v54, v[144:145] offset:24832                  // 00000000862C: D89A6100 00009036
	ds_write_b64 v54, v[146:147] offset:41216                  // 000000008634: D89AA100 00009236
	ds_write_b64 v54, v[148:149] offset:26880                  // 00000000863C: D89A6900 00009436
	ds_write_b64 v54, v[150:151] offset:43264                  // 000000008644: D89AA900 00009636
	ds_write_b64 v54, v[152:153] offset:28928                  // 00000000864C: D89A7100 00009836
	ds_write_b64 v54, v[154:155] offset:45312                  // 000000008654: D89AB100 00009A36
	ds_write_b64 v54, v[156:157] offset:30976                  // 00000000865C: D89A7900 00009C36
	ds_write_b64 v54, v[158:159] offset:47360                  // 000000008664: D89AB900 00009E36
	s_waitcnt lgkmcnt(0)                                       // 00000000866C: BF8CC07F
	s_barrier                                                  // 000000008670: BF8A0000
	v_lshrrev_b32_e32 v54, 4, v0                               // 000000008674: 206C0084
	v_lshlrev_b32_e32 v55, 6, v54                              // 000000008678: 246E6C86
	v_and_b32_e32 v54, 15, v0                                  // 00000000867C: 266C008F
	v_lshlrev_b32_e32 v54, 1, v54                              // 000000008680: 246C6C81
	v_add_u32_e32 v55, v54, v55                                // 000000008684: 686E6F36
	v_lshlrev_b32_e32 v54, 2, v55                              // 000000008688: 246C6E82
	ds_read_b64 v[128:129], v54 offset:16640                   // 00000000868C: D8EC4100 80000036
	ds_read_b64 v[130:131], v54 offset:16768                   // 000000008694: D8EC4180 82000036
	ds_read_b64 v[132:133], v54 offset:17664                   // 00000000869C: D8EC4500 84000036
	ds_read_b64 v[134:135], v54 offset:17792                   // 0000000086A4: D8EC4580 86000036
	ds_read_b64 v[136:137], v54 offset:18688                   // 0000000086AC: D8EC4900 88000036
	ds_read_b64 v[138:139], v54 offset:18816                   // 0000000086B4: D8EC4980 8A000036
	ds_read_b64 v[140:141], v54 offset:19712                   // 0000000086BC: D8EC4D00 8C000036
	ds_read_b64 v[142:143], v54 offset:19840                   // 0000000086C4: D8EC4D80 8E000036
	ds_read_b64 v[144:145], v54 offset:20736                   // 0000000086CC: D8EC5100 90000036
	ds_read_b64 v[146:147], v54 offset:20864                   // 0000000086D4: D8EC5180 92000036
	ds_read_b64 v[148:149], v54 offset:21760                   // 0000000086DC: D8EC5500 94000036
	ds_read_b64 v[150:151], v54 offset:21888                   // 0000000086E4: D8EC5580 96000036
	ds_read_b64 v[152:153], v54 offset:22784                   // 0000000086EC: D8EC5900 98000036
	ds_read_b64 v[154:155], v54 offset:22912                   // 0000000086F4: D8EC5980 9A000036
	ds_read_b64 v[156:157], v54 offset:23808                   // 0000000086FC: D8EC5D00 9C000036
	ds_read_b64 v[158:159], v54 offset:23936                   // 000000008704: D8EC5D80 9E000036
	ds_read_b64 v[160:161], v54 offset:24832                   // 00000000870C: D8EC6100 A0000036
	ds_read_b64 v[162:163], v54 offset:24960                   // 000000008714: D8EC6180 A2000036
	ds_read_b64 v[164:165], v54 offset:25856                   // 00000000871C: D8EC6500 A4000036
	ds_read_b64 v[166:167], v54 offset:25984                   // 000000008724: D8EC6580 A6000036
	ds_read_b64 v[168:169], v54 offset:26880                   // 00000000872C: D8EC6900 A8000036
	ds_read_b64 v[170:171], v54 offset:27008                   // 000000008734: D8EC6980 AA000036
	ds_read_b64 v[172:173], v54 offset:27904                   // 00000000873C: D8EC6D00 AC000036
	ds_read_b64 v[174:175], v54 offset:28032                   // 000000008744: D8EC6D80 AE000036
	ds_read_b64 v[176:177], v54 offset:28928                   // 00000000874C: D8EC7100 B0000036
	ds_read_b64 v[178:179], v54 offset:29056                   // 000000008754: D8EC7180 B2000036
	ds_read_b64 v[180:181], v54 offset:29952                   // 00000000875C: D8EC7500 B4000036
	ds_read_b64 v[182:183], v54 offset:30080                   // 000000008764: D8EC7580 B6000036
	ds_read_b64 v[184:185], v54 offset:30976                   // 00000000876C: D8EC7900 B8000036
	ds_read_b64 v[186:187], v54 offset:31104                   // 000000008774: D8EC7980 BA000036
	ds_read_b64 v[188:189], v54 offset:32000                   // 00000000877C: D8EC7D00 BC000036
	ds_read_b64 v[190:191], v54 offset:32128                   // 000000008784: D8EC7D80 BE000036
	ds_read_b64 v[192:193], v54 offset:33024                   // 00000000878C: D8EC8100 C0000036
	ds_read_b64 v[194:195], v54 offset:33152                   // 000000008794: D8EC8180 C2000036
	ds_read_b64 v[196:197], v54 offset:34048                   // 00000000879C: D8EC8500 C4000036
	ds_read_b64 v[198:199], v54 offset:34176                   // 0000000087A4: D8EC8580 C6000036
	ds_read_b64 v[200:201], v54 offset:35072                   // 0000000087AC: D8EC8900 C8000036
	ds_read_b64 v[202:203], v54 offset:35200                   // 0000000087B4: D8EC8980 CA000036
	ds_read_b64 v[204:205], v54 offset:36096                   // 0000000087BC: D8EC8D00 CC000036
	ds_read_b64 v[206:207], v54 offset:36224                   // 0000000087C4: D8EC8D80 CE000036
	ds_read_b64 v[208:209], v54 offset:37120                   // 0000000087CC: D8EC9100 D0000036
	ds_read_b64 v[210:211], v54 offset:37248                   // 0000000087D4: D8EC9180 D2000036
	ds_read_b64 v[212:213], v54 offset:38144                   // 0000000087DC: D8EC9500 D4000036
	ds_read_b64 v[214:215], v54 offset:38272                   // 0000000087E4: D8EC9580 D6000036
	ds_read_b64 v[216:217], v54 offset:39168                   // 0000000087EC: D8EC9900 D8000036
	ds_read_b64 v[218:219], v54 offset:39296                   // 0000000087F4: D8EC9980 DA000036
	ds_read_b64 v[220:221], v54 offset:40192                   // 0000000087FC: D8EC9D00 DC000036
	ds_read_b64 v[222:223], v54 offset:40320                   // 000000008804: D8EC9D80 DE000036
	ds_read_b64 v[224:225], v54 offset:41216                   // 00000000880C: D8ECA100 E0000036
	ds_read_b64 v[226:227], v54 offset:41344                   // 000000008814: D8ECA180 E2000036
	ds_read_b64 v[228:229], v54 offset:42240                   // 00000000881C: D8ECA500 E4000036
	ds_read_b64 v[230:231], v54 offset:42368                   // 000000008824: D8ECA580 E6000036
	ds_read_b64 v[232:233], v54 offset:43264                   // 00000000882C: D8ECA900 E8000036
	ds_read_b64 v[234:235], v54 offset:43392                   // 000000008834: D8ECA980 EA000036
	ds_read_b64 v[236:237], v54 offset:44288                   // 00000000883C: D8ECAD00 EC000036
	ds_read_b64 v[238:239], v54 offset:44416                   // 000000008844: D8ECAD80 EE000036
	ds_read_b64 v[240:241], v54 offset:45312                   // 00000000884C: D8ECB100 F0000036
	ds_read_b64 v[242:243], v54 offset:45440                   // 000000008854: D8ECB180 F2000036
	ds_read_b64 v[244:245], v54 offset:46336                   // 00000000885C: D8ECB500 F4000036
	ds_read_b64 v[246:247], v54 offset:46464                   // 000000008864: D8ECB580 F6000036
	ds_read_b64 v[248:249], v54 offset:47360                   // 00000000886C: D8ECB900 F8000036
	ds_read_b64 v[250:251], v54 offset:47488                   // 000000008874: D8ECB980 FA000036
	ds_read_b64 v[252:253], v54 offset:48384                   // 00000000887C: D8ECBD00 FC000036
	ds_read_b64 v[254:255], v54 offset:48512                   // 000000008884: D8ECBD80 FE000036
	s_add_u32 s12, s56, s12                                    // 00000000888C: 800C0C38
	s_addc_u32 s13, 0, s13                                     // 000000008890: 820D0D80
	v_mov_b32_e32 v64, 0                                       // 000000008894: 7E800280
	v_mov_b32_e32 v80, 0                                       // 000000008898: 7EA00280
	v_mov_b32_e32 v65, 0                                       // 00000000889C: 7E820280
	v_mov_b32_e32 v81, 0                                       // 0000000088A0: 7EA20280
	v_mov_b32_e32 v66, 0                                       // 0000000088A4: 7E840280
	v_mov_b32_e32 v82, 0                                       // 0000000088A8: 7EA40280
	v_mov_b32_e32 v67, 0                                       // 0000000088AC: 7E860280
	v_mov_b32_e32 v83, 0                                       // 0000000088B0: 7EA60280
	v_mov_b32_e32 v68, 0                                       // 0000000088B4: 7E880280
	v_mov_b32_e32 v84, 0                                       // 0000000088B8: 7EA80280
	v_mov_b32_e32 v69, 0                                       // 0000000088BC: 7E8A0280
	v_mov_b32_e32 v85, 0                                       // 0000000088C0: 7EAA0280
	v_mov_b32_e32 v70, 0                                       // 0000000088C4: 7E8C0280
	v_mov_b32_e32 v86, 0                                       // 0000000088C8: 7EAC0280
	v_mov_b32_e32 v71, 0                                       // 0000000088CC: 7E8E0280
	v_mov_b32_e32 v87, 0                                       // 0000000088D0: 7EAE0280
	ds_write_b64 v3, v[64:65] offset:16640                     // 0000000088D4: D89A4100 00004003
	ds_write_b64 v3, v[66:67] offset:20992                     // 0000000088DC: D89A5200 00004203
	ds_write_b64 v3, v[68:69] offset:18816                     // 0000000088E4: D89A4980 00004403
	ds_write_b64 v3, v[70:71] offset:23168                     // 0000000088EC: D89A5A80 00004603
	s_mov_b32 s80, 0                                           // 0000000088F4: BED00080
	s_waitcnt vmcnt(24)                                        // 0000000088F8: BF8C4F78

00000000000088fc <label_16BF>:
	s_waitcnt vmcnt(30) lgkmcnt(0)                             // 0000000088FC: BF8C407E
	s_barrier                                                  // 000000008900: BF8A0000
	v_mfma_f32_16x16x16_bf16 v[64:67], a[0:1], v[128:129], 0   // 000000008904: D3E10040 0A030100
	buffer_load_dwordx4 a[128:131], v18, s[12:15], 0 offen     // 00000000890C: E05C1000 80838012
	v_mfma_f32_16x16x16_bf16 v[64:67], a[2:3], v[130:131], v[64:67]// 000000008914: D3E10040 0D030502
	ds_read_b32 v10, v4 offset:16640                           // 00000000891C: D86C4100 0A000004
	ds_read_b32 v11, v4 offset:16672                           // 000000008924: D86C4120 0B000004
	v_mfma_f32_16x16x16_bf16 v[64:67], a[4:5], v[132:133], v[64:67]// 00000000892C: D3E10040 0D030904
	v_mfma_f32_16x16x16_bf16 v[64:67], a[6:7], v[134:135], v[64:67]// 000000008934: D3E10040 0D030D06
	ds_read_b32 v12, v4 offset:16704                           // 00000000893C: D86C4140 0C000004
	ds_read_b32 v13, v4 offset:16736                           // 000000008944: D86C4160 0D000004
	v_mfma_f32_16x16x16_bf16 v[64:67], a[8:9], v[136:137], v[64:67]// 00000000894C: D3E10040 0D031108
	buffer_load_dwordx4 a[132:135], v18, s[12:15], 0 offen offset:1024// 000000008954: E05C1400 80838412
	v_mfma_f32_16x16x16_bf16 v[64:67], a[10:11], v[138:139], v[64:67]// 00000000895C: D3E10040 0D03150A
	ds_read_b32 v14, v4 offset:20992                           // 000000008964: D86C5200 0E000004
	ds_read_b32 v15, v4 offset:21024                           // 00000000896C: D86C5220 0F000004
	v_mfma_f32_16x16x16_bf16 v[64:67], a[12:13], v[140:141], v[64:67]// 000000008974: D3E10040 0D03190C
	v_mfma_f32_16x16x16_bf16 v[64:67], a[14:15], v[142:143], v[64:67]// 00000000897C: D3E10040 0D031D0E
	ds_read_b32 v16, v4 offset:21056                           // 000000008984: D86C5240 10000004
	ds_read_b32 v17, v4 offset:21088                           // 00000000898C: D86C5260 11000004
	v_mfma_f32_16x16x16_bf16 v[68:71], a[0:1], v[192:193], 0   // 000000008994: D3E10044 0A038100
	buffer_load_dwordx4 a[136:139], v18, s[12:15], 0 offen offset:2048// 00000000899C: E05C1800 80838812
	v_mfma_f32_16x16x16_bf16 v[68:71], a[2:3], v[194:195], v[68:71]// 0000000089A4: D3E10044 0D138502
	v_mfma_f32_16x16x16_bf16 v[68:71], a[4:5], v[196:197], v[68:71]// 0000000089AC: D3E10044 0D138904
	v_mfma_f32_16x16x16_bf16 v[68:71], a[6:7], v[198:199], v[68:71]// 0000000089B4: D3E10044 0D138D06
	v_mfma_f32_16x16x16_bf16 v[68:71], a[8:9], v[200:201], v[68:71]// 0000000089BC: D3E10044 0D139108
	buffer_load_dwordx4 a[140:143], v18, s[12:15], 0 offen offset:3072// 0000000089C4: E05C1C00 80838C12
	v_mfma_f32_16x16x16_bf16 v[68:71], a[10:11], v[202:203], v[68:71]// 0000000089CC: D3E10044 0D13950A
	v_mfma_f32_16x16x16_bf16 v[68:71], a[12:13], v[204:205], v[68:71]// 0000000089D4: D3E10044 0D13990C
	s_waitcnt lgkmcnt(0)                                       // 0000000089DC: BF8CC07F
	s_mov_b64 exec, s[16:17]                                   // 0000000089E0: BEFE0110
	global_atomic_pk_add_f16 v34, v10, s[8:9]                  // 0000000089E4: DD388000 00080A22
	s_mov_b64 exec, s[38:39]                                   // 0000000089EC: BEFE0126
	v_mfma_f32_16x16x16_bf16 v[68:71], a[14:15], v[206:207], v[68:71]// 0000000089F0: D3E10044 0D139D0E
	v_mfma_f32_16x16x16_bf16 v[72:75], a[16:17], v[128:129], 0 // 0000000089F8: D3E10048 0A030110
	buffer_load_dwordx4 a[144:147], v19, s[12:15], 0 offen     // 000000008A00: E05C1000 80839013
	v_mfma_f32_16x16x16_bf16 v[72:75], a[18:19], v[130:131], v[72:75]// 000000008A08: D3E10048 0D230512
	v_mfma_f32_16x16x16_bf16 v[72:75], a[20:21], v[132:133], v[72:75]// 000000008A10: D3E10048 0D230914
	v_mfma_f32_16x16x16_bf16 v[72:75], a[22:23], v[134:135], v[72:75]// 000000008A18: D3E10048 0D230D16
	v_mfma_f32_16x16x16_bf16 v[72:75], a[24:25], v[136:137], v[72:75]// 000000008A20: D3E10048 0D231118
	buffer_load_dwordx4 a[148:151], v19, s[12:15], 0 offen offset:1024// 000000008A28: E05C1400 80839413
	v_mfma_f32_16x16x16_bf16 v[72:75], a[26:27], v[138:139], v[72:75]// 000000008A30: D3E10048 0D23151A
	v_mfma_f32_16x16x16_bf16 v[72:75], a[28:29], v[140:141], v[72:75]// 000000008A38: D3E10048 0D23191C
	v_mfma_f32_16x16x16_bf16 v[72:75], a[30:31], v[142:143], v[72:75]// 000000008A40: D3E10048 0D231D1E
	v_mfma_f32_16x16x16_bf16 v[76:79], a[16:17], v[192:193], 0 // 000000008A48: D3E1004C 0A038110
	buffer_load_dwordx4 a[152:155], v19, s[12:15], 0 offen offset:2048// 000000008A50: E05C1800 80839813
	v_mfma_f32_16x16x16_bf16 v[76:79], a[18:19], v[194:195], v[76:79]// 000000008A58: D3E1004C 0D338512
	v_mfma_f32_16x16x16_bf16 v[76:79], a[20:21], v[196:197], v[76:79]// 000000008A60: D3E1004C 0D338914
	v_mfma_f32_16x16x16_bf16 v[76:79], a[22:23], v[198:199], v[76:79]// 000000008A68: D3E1004C 0D338D16
	v_mfma_f32_16x16x16_bf16 v[76:79], a[24:25], v[200:201], v[76:79]// 000000008A70: D3E1004C 0D339118
	buffer_load_dwordx4 a[156:159], v19, s[12:15], 0 offen offset:3072// 000000008A78: E05C1C00 80839C13
	v_mfma_f32_16x16x16_bf16 v[76:79], a[26:27], v[202:203], v[76:79]// 000000008A80: D3E1004C 0D33951A
	v_mfma_f32_16x16x16_bf16 v[76:79], a[28:29], v[204:205], v[76:79]// 000000008A88: D3E1004C 0D33991C
	s_mov_b64 exec, s[18:19]                                   // 000000008A90: BEFE0112
	global_atomic_pk_add_f16 v36, v11, s[8:9]                  // 000000008A94: DD388000 00080B24
	s_mov_b64 exec, s[38:39]                                   // 000000008A9C: BEFE0126
	v_mfma_f32_16x16x16_bf16 v[76:79], a[30:31], v[206:207], v[76:79]// 000000008AA0: D3E1004C 0D339D1E
	s_waitcnt vmcnt(30)                                        // 000000008AA8: BF8C4F7E
	v_mfma_f32_16x16x16_bf16 v[64:67], a[32:33], v[144:145], v[64:67]// 000000008AAC: D3E10040 0D032120
	buffer_load_dwordx4 a[160:163], v20, s[12:15], 0 offen     // 000000008AB4: E05C1000 8083A014
	v_mfma_f32_16x16x16_bf16 v[64:67], a[34:35], v[146:147], v[64:67]// 000000008ABC: D3E10040 0D032522
	ds_write_b64 v3, v[80:81] offset:25344                     // 000000008AC4: D89A6300 00005003
	v_mfma_f32_16x16x16_bf16 v[64:67], a[36:37], v[148:149], v[64:67]// 000000008ACC: D3E10040 0D032924
	v_mfma_f32_16x16x16_bf16 v[64:67], a[38:39], v[150:151], v[64:67]// 000000008AD4: D3E10040 0D032D26
	ds_write_b64 v3, v[82:83] offset:29696                     // 000000008ADC: D89A7400 00005203
	v_mfma_f32_16x16x16_bf16 v[64:67], a[40:41], v[152:153], v[64:67]// 000000008AE4: D3E10040 0D033128
	buffer_load_dwordx4 a[164:167], v20, s[12:15], 0 offen offset:1024// 000000008AEC: E05C1400 8083A414
	v_mfma_f32_16x16x16_bf16 v[64:67], a[42:43], v[154:155], v[64:67]// 000000008AF4: D3E10040 0D03352A
	ds_write_b64 v3, v[84:85] offset:27520                     // 000000008AFC: D89A6B80 00005403
	v_mfma_f32_16x16x16_bf16 v[64:67], a[44:45], v[156:157], v[64:67]// 000000008B04: D3E10040 0D03392C
	v_mfma_f32_16x16x16_bf16 v[64:67], a[46:47], v[158:159], v[64:67]// 000000008B0C: D3E10040 0D033D2E
	ds_write_b64 v3, v[86:87] offset:31872                     // 000000008B14: D89A7C80 00005603
	v_mfma_f32_16x16x16_bf16 v[68:71], a[32:33], v[208:209], v[68:71]// 000000008B1C: D3E10044 0D13A120
	buffer_load_dwordx4 a[168:171], v20, s[12:15], 0 offen offset:2048// 000000008B24: E05C1800 8083A814
	v_mfma_f32_16x16x16_bf16 v[68:71], a[34:35], v[210:211], v[68:71]// 000000008B2C: D3E10044 0D13A522
	v_mfma_f32_16x16x16_bf16 v[68:71], a[36:37], v[212:213], v[68:71]// 000000008B34: D3E10044 0D13A924
	v_mfma_f32_16x16x16_bf16 v[68:71], a[38:39], v[214:215], v[68:71]// 000000008B3C: D3E10044 0D13AD26
	v_mfma_f32_16x16x16_bf16 v[68:71], a[40:41], v[216:217], v[68:71]// 000000008B44: D3E10044 0D13B128
	buffer_load_dwordx4 a[172:175], v20, s[12:15], 0 offen offset:3072// 000000008B4C: E05C1C00 8083AC14
	v_mfma_f32_16x16x16_bf16 v[68:71], a[42:43], v[218:219], v[68:71]// 000000008B54: D3E10044 0D13B52A
	v_mfma_f32_16x16x16_bf16 v[68:71], a[44:45], v[220:221], v[68:71]// 000000008B5C: D3E10044 0D13B92C
	s_mov_b64 exec, s[20:21]                                   // 000000008B64: BEFE0114
	global_atomic_pk_add_f16 v38, v12, s[8:9]                  // 000000008B68: DD388000 00080C26
	s_mov_b64 exec, s[38:39]                                   // 000000008B70: BEFE0126
	v_mfma_f32_16x16x16_bf16 v[68:71], a[46:47], v[222:223], v[68:71]// 000000008B74: D3E10044 0D13BD2E
	v_mfma_f32_16x16x16_bf16 v[72:75], a[48:49], v[144:145], v[72:75]// 000000008B7C: D3E10048 0D232130
	buffer_load_dwordx4 a[176:179], v21, s[12:15], 0 offen     // 000000008B84: E05C1000 8083B015
	v_mfma_f32_16x16x16_bf16 v[72:75], a[50:51], v[146:147], v[72:75]// 000000008B8C: D3E10048 0D232532
	v_mfma_f32_16x16x16_bf16 v[72:75], a[52:53], v[148:149], v[72:75]// 000000008B94: D3E10048 0D232934
	v_mfma_f32_16x16x16_bf16 v[72:75], a[54:55], v[150:151], v[72:75]// 000000008B9C: D3E10048 0D232D36
	v_mfma_f32_16x16x16_bf16 v[72:75], a[56:57], v[152:153], v[72:75]// 000000008BA4: D3E10048 0D233138
	buffer_load_dwordx4 a[180:183], v21, s[12:15], 0 offen offset:1024// 000000008BAC: E05C1400 8083B415
	v_mfma_f32_16x16x16_bf16 v[72:75], a[58:59], v[154:155], v[72:75]// 000000008BB4: D3E10048 0D23353A
	v_mfma_f32_16x16x16_bf16 v[72:75], a[60:61], v[156:157], v[72:75]// 000000008BBC: D3E10048 0D23393C
	v_mfma_f32_16x16x16_bf16 v[72:75], a[62:63], v[158:159], v[72:75]// 000000008BC4: D3E10048 0D233D3E
	v_mfma_f32_16x16x16_bf16 v[76:79], a[48:49], v[208:209], v[76:79]// 000000008BCC: D3E1004C 0D33A130
	buffer_load_dwordx4 a[184:187], v21, s[12:15], 0 offen offset:2048// 000000008BD4: E05C1800 8083B815
	v_mfma_f32_16x16x16_bf16 v[76:79], a[50:51], v[210:211], v[76:79]// 000000008BDC: D3E1004C 0D33A532
	v_mfma_f32_16x16x16_bf16 v[76:79], a[52:53], v[212:213], v[76:79]// 000000008BE4: D3E1004C 0D33A934
	v_mfma_f32_16x16x16_bf16 v[76:79], a[54:55], v[214:215], v[76:79]// 000000008BEC: D3E1004C 0D33AD36
	v_mfma_f32_16x16x16_bf16 v[76:79], a[56:57], v[216:217], v[76:79]// 000000008BF4: D3E1004C 0D33B138
	buffer_load_dwordx4 a[188:191], v21, s[12:15], 0 offen offset:3072// 000000008BFC: E05C1C00 8083BC15
	v_mfma_f32_16x16x16_bf16 v[76:79], a[58:59], v[218:219], v[76:79]// 000000008C04: D3E1004C 0D33B53A
	v_mfma_f32_16x16x16_bf16 v[76:79], a[60:61], v[220:221], v[76:79]// 000000008C0C: D3E1004C 0D33B93C
	s_mov_b64 exec, s[22:23]                                   // 000000008C14: BEFE0116
	global_atomic_pk_add_f16 v40, v13, s[8:9]                  // 000000008C18: DD388000 00080D28
	s_mov_b64 exec, s[38:39]                                   // 000000008C20: BEFE0126
	v_mfma_f32_16x16x16_bf16 v[76:79], a[62:63], v[222:223], v[76:79]// 000000008C24: D3E1004C 0D33BD3E
	s_waitcnt vmcnt(30)                                        // 000000008C2C: BF8C4F7E
	v_mfma_f32_16x16x16_bf16 v[64:67], a[64:65], v[160:161], v[64:67]// 000000008C30: D3E10040 0D034140
	buffer_load_dwordx4 a[192:195], v22, s[12:15], 0 offen     // 000000008C38: E05C1000 8083C016
	v_mfma_f32_16x16x16_bf16 v[64:67], a[66:67], v[162:163], v[64:67]// 000000008C40: D3E10040 0D034542
	v_mfma_f32_16x16x16_bf16 v[64:67], a[68:69], v[164:165], v[64:67]// 000000008C48: D3E10040 0D034944
	s_add_u32 s60, 0x100, s80                                  // 000000008C50: 803C50FF 00000100
	s_cmp_lt_u32 s60, s81                                      // 000000008C58: BF0A513C
	s_cselect_b32 s56, s56, 0                                  // 000000008C5C: 85388038
	v_mfma_f32_16x16x16_bf16 v[64:67], a[70:71], v[166:167], v[64:67]// 000000008C60: D3E10040 0D034D46
	v_mfma_f32_16x16x16_bf16 v[64:67], a[72:73], v[168:169], v[64:67]// 000000008C68: D3E10040 0D035148
	buffer_load_dwordx4 a[196:199], v22, s[12:15], 0 offen offset:1024// 000000008C70: E05C1400 8083C416
	v_mfma_f32_16x16x16_bf16 v[64:67], a[74:75], v[170:171], v[64:67]// 000000008C78: D3E10040 0D03554A
	v_mfma_f32_16x16x16_bf16 v[64:67], a[76:77], v[172:173], v[64:67]// 000000008C80: D3E10040 0D03594C
	s_cmp_ge_u32 s80, 0x100                                    // 000000008C88: BF09FF50 00000100
	s_cselect_b32 s59, 0x100, s59                              // 000000008C90: 853B3BFF 00000100
	v_mfma_f32_16x16x16_bf16 v[64:67], a[78:79], v[174:175], v[64:67]// 000000008C98: D3E10040 0D035D4E
	v_mfma_f32_16x16x16_bf16 v[68:71], a[64:65], v[224:225], v[68:71]// 000000008CA0: D3E10044 0D13C140
	buffer_load_dwordx4 a[200:203], v22, s[12:15], 0 offen offset:2048// 000000008CA8: E05C1800 8083C816
	v_mfma_f32_16x16x16_bf16 v[68:71], a[66:67], v[226:227], v[68:71]// 000000008CB0: D3E10044 0D13C542
	v_mfma_f32_16x16x16_bf16 v[68:71], a[68:69], v[228:229], v[68:71]// 000000008CB8: D3E10044 0D13C944
	s_add_u32 s16, s57, s16                                    // 000000008CC0: 80101039
	s_addc_u32 s17, 0, s17                                     // 000000008CC4: 82111180
	v_mfma_f32_16x16x16_bf16 v[68:71], a[70:71], v[230:231], v[68:71]// 000000008CC8: D3E10044 0D13CD46
	v_mfma_f32_16x16x16_bf16 v[68:71], a[72:73], v[232:233], v[68:71]// 000000008CD0: D3E10044 0D13D148
	buffer_load_dwordx4 a[204:207], v22, s[12:15], 0 offen offset:3072// 000000008CD8: E05C1C00 8083CC16
	v_mfma_f32_16x16x16_bf16 v[68:71], a[74:75], v[234:235], v[68:71]// 000000008CE0: D3E10044 0D13D54A
	v_mfma_f32_16x16x16_bf16 v[68:71], a[76:77], v[236:237], v[68:71]// 000000008CE8: D3E10044 0D13D94C
	s_mov_b64 exec, s[24:25]                                   // 000000008CF0: BEFE0118
	global_atomic_pk_add_f16 v42, v14, s[8:9]                  // 000000008CF4: DD388000 00080E2A
	s_mov_b64 exec, s[38:39]                                   // 000000008CFC: BEFE0126
	v_mfma_f32_16x16x16_bf16 v[68:71], a[78:79], v[238:239], v[68:71]// 000000008D00: D3E10044 0D13DD4E
	v_mfma_f32_16x16x16_bf16 v[72:75], a[80:81], v[160:161], v[72:75]// 000000008D08: D3E10048 0D234150
	buffer_load_dwordx4 a[208:211], v23, s[12:15], 0 offen     // 000000008D10: E05C1000 8083D017
	v_mfma_f32_16x16x16_bf16 v[72:75], a[82:83], v[162:163], v[72:75]// 000000008D18: D3E10048 0D234552
	v_mfma_f32_16x16x16_bf16 v[72:75], a[84:85], v[164:165], v[72:75]// 000000008D20: D3E10048 0D234954
	v_mfma_f32_16x16x16_bf16 v[72:75], a[86:87], v[166:167], v[72:75]// 000000008D28: D3E10048 0D234D56
	v_mfma_f32_16x16x16_bf16 v[72:75], a[88:89], v[168:169], v[72:75]// 000000008D30: D3E10048 0D235158
	buffer_load_dwordx4 a[212:215], v23, s[12:15], 0 offen offset:1024// 000000008D38: E05C1400 8083D417
	v_mfma_f32_16x16x16_bf16 v[72:75], a[90:91], v[170:171], v[72:75]// 000000008D40: D3E10048 0D23555A
	v_mfma_f32_16x16x16_bf16 v[72:75], a[92:93], v[172:173], v[72:75]// 000000008D48: D3E10048 0D23595C
	v_mfma_f32_16x16x16_bf16 v[72:75], a[94:95], v[174:175], v[72:75]// 000000008D50: D3E10048 0D235D5E
	v_mfma_f32_16x16x16_bf16 v[76:79], a[80:81], v[224:225], v[76:79]// 000000008D58: D3E1004C 0D33C150
	buffer_load_dwordx4 a[216:219], v23, s[12:15], 0 offen offset:2048// 000000008D60: E05C1800 8083D817
	v_mfma_f32_16x16x16_bf16 v[76:79], a[82:83], v[226:227], v[76:79]// 000000008D68: D3E1004C 0D33C552
	v_mfma_f32_16x16x16_bf16 v[76:79], a[84:85], v[228:229], v[76:79]// 000000008D70: D3E1004C 0D33C954
	v_mfma_f32_16x16x16_bf16 v[76:79], a[86:87], v[230:231], v[76:79]// 000000008D78: D3E1004C 0D33CD56
	v_mfma_f32_16x16x16_bf16 v[76:79], a[88:89], v[232:233], v[76:79]// 000000008D80: D3E1004C 0D33D158
	buffer_load_dwordx4 a[220:223], v23, s[12:15], 0 offen offset:3072// 000000008D88: E05C1C00 8083DC17
	v_mfma_f32_16x16x16_bf16 v[76:79], a[90:91], v[234:235], v[76:79]// 000000008D90: D3E1004C 0D33D55A
	v_mfma_f32_16x16x16_bf16 v[76:79], a[92:93], v[236:237], v[76:79]// 000000008D98: D3E1004C 0D33D95C
	s_mov_b64 exec, s[26:27]                                   // 000000008DA0: BEFE011A
	global_atomic_pk_add_f16 v44, v15, s[8:9]                  // 000000008DA4: DD388000 00080F2C
	s_mov_b64 exec, s[38:39]                                   // 000000008DAC: BEFE0126
	v_mfma_f32_16x16x16_bf16 v[76:79], a[94:95], v[238:239], v[76:79]// 000000008DB0: D3E1004C 0D33DD5E
	s_waitcnt vmcnt(30)                                        // 000000008DB8: BF8C4F7E
	v_mfma_f32_16x16x16_bf16 v[64:67], a[96:97], v[176:177], v[64:67]// 000000008DBC: D3E10040 0D036160
	buffer_load_dwordx4 a[224:227], v24, s[12:15], 0 offen     // 000000008DC4: E05C1000 8083E018
	v_mfma_f32_16x16x16_bf16 v[64:67], a[98:99], v[178:179], v[64:67]// 000000008DCC: D3E10040 0D036562
	v_mfma_f32_16x16x16_bf16 v[64:67], a[100:101], v[180:181], v[64:67]// 000000008DD4: D3E10040 0D036964
	v_mfma_f32_16x16x16_bf16 v[64:67], a[102:103], v[182:183], v[64:67]// 000000008DDC: D3E10040 0D036D66
	v_mfma_f32_16x16x16_bf16 v[64:67], a[104:105], v[184:185], v[64:67]// 000000008DE4: D3E10040 0D037168
	buffer_load_dwordx4 a[228:231], v24, s[12:15], 0 offen offset:1024// 000000008DEC: E05C1400 8083E418
	v_mfma_f32_16x16x16_bf16 v[64:67], a[106:107], v[186:187], v[64:67]// 000000008DF4: D3E10040 0D03756A
	v_mfma_f32_16x16x16_bf16 v[64:67], a[108:109], v[188:189], v[64:67]// 000000008DFC: D3E10040 0D03796C
	v_mfma_f32_16x16x16_bf16 v[64:67], a[110:111], v[190:191], v[64:67]// 000000008E04: D3E10040 0D037D6E
	v_mfma_f32_16x16x16_bf16 v[68:71], a[96:97], v[240:241], v[68:71]// 000000008E0C: D3E10044 0D13E160
	buffer_load_dwordx4 a[232:235], v24, s[12:15], 0 offen offset:2048// 000000008E14: E05C1800 8083E818
	v_mfma_f32_16x16x16_bf16 v[68:71], a[98:99], v[242:243], v[68:71]// 000000008E1C: D3E10044 0D13E562
	v_mfma_f32_16x16x16_bf16 v[68:71], a[100:101], v[244:245], v[68:71]// 000000008E24: D3E10044 0D13E964
	v_mfma_f32_16x16x16_bf16 v[68:71], a[102:103], v[246:247], v[68:71]// 000000008E2C: D3E10044 0D13ED66
	v_mfma_f32_16x16x16_bf16 v[68:71], a[104:105], v[248:249], v[68:71]// 000000008E34: D3E10044 0D13F168
	buffer_load_dwordx4 a[236:239], v24, s[12:15], 0 offen offset:3072// 000000008E3C: E05C1C00 8083EC18
	v_mfma_f32_16x16x16_bf16 v[68:71], a[106:107], v[250:251], v[68:71]// 000000008E44: D3E10044 0D13F56A
	v_mfma_f32_16x16x16_bf16 v[68:71], a[108:109], v[252:253], v[68:71]// 000000008E4C: D3E10044 0D13F96C
	s_mov_b64 exec, s[28:29]                                   // 000000008E54: BEFE011C
	global_atomic_pk_add_f16 v46, v16, s[8:9]                  // 000000008E58: DD388000 0008102E
	s_mov_b64 exec, s[38:39]                                   // 000000008E60: BEFE0126
	v_mfma_f32_16x16x16_bf16 v[68:71], a[110:111], v[254:255], v[68:71]// 000000008E64: D3E10044 0D13FD6E
	v_mfma_f32_16x16x16_bf16 v[72:75], a[112:113], v[176:177], v[72:75]// 000000008E6C: D3E10048 0D236170
	buffer_load_dwordx4 a[240:243], v25, s[12:15], 0 offen     // 000000008E74: E05C1000 8083F019
	v_mfma_f32_16x16x16_bf16 v[72:75], a[114:115], v[178:179], v[72:75]// 000000008E7C: D3E10048 0D236572
	v_mfma_f32_16x16x16_bf16 v[72:75], a[116:117], v[180:181], v[72:75]// 000000008E84: D3E10048 0D236974
	v_mfma_f32_16x16x16_bf16 v[72:75], a[118:119], v[182:183], v[72:75]// 000000008E8C: D3E10048 0D236D76
	v_mfma_f32_16x16x16_bf16 v[72:75], a[120:121], v[184:185], v[72:75]// 000000008E94: D3E10048 0D237178
	buffer_load_dwordx4 a[244:247], v25, s[12:15], 0 offen offset:1024// 000000008E9C: E05C1400 8083F419
	v_mfma_f32_16x16x16_bf16 v[72:75], a[122:123], v[186:187], v[72:75]// 000000008EA4: D3E10048 0D23757A
	v_mfma_f32_16x16x16_bf16 v[72:75], a[124:125], v[188:189], v[72:75]// 000000008EAC: D3E10048 0D23797C
	v_mfma_f32_16x16x16_bf16 v[72:75], a[126:127], v[190:191], v[72:75]// 000000008EB4: D3E10048 0D237D7E
	v_mfma_f32_16x16x16_bf16 v[76:79], a[112:113], v[240:241], v[76:79]// 000000008EBC: D3E1004C 0D33E170
	buffer_load_dwordx4 a[248:251], v25, s[12:15], 0 offen offset:2048// 000000008EC4: E05C1800 8083F819
	v_mfma_f32_16x16x16_bf16 v[76:79], a[114:115], v[242:243], v[76:79]// 000000008ECC: D3E1004C 0D33E572
	v_mfma_f32_16x16x16_bf16 v[76:79], a[116:117], v[244:245], v[76:79]// 000000008ED4: D3E1004C 0D33E974
	v_mfma_f32_16x16x16_bf16 v[76:79], a[118:119], v[246:247], v[76:79]// 000000008EDC: D3E1004C 0D33ED76
	v_mfma_f32_16x16x16_bf16 v[76:79], a[120:121], v[248:249], v[76:79]// 000000008EE4: D3E1004C 0D33F178
	buffer_load_dwordx4 a[252:255], v25, s[12:15], 0 offen offset:3072// 000000008EEC: E05C1C00 8083FC19
	v_mfma_f32_16x16x16_bf16 v[76:79], a[122:123], v[250:251], v[76:79]// 000000008EF4: D3E1004C 0D33F57A
	v_mfma_f32_16x16x16_bf16 v[76:79], a[124:125], v[252:253], v[76:79]// 000000008EFC: D3E1004C 0D33F97C
	s_mov_b64 exec, s[30:31]                                   // 000000008F04: BEFE011E
	global_atomic_pk_add_f16 v48, v17, s[8:9]                  // 000000008F08: DD388000 00081130
	s_mov_b64 exec, s[38:39]                                   // 000000008F10: BEFE0126
	s_add_u32 s12, s56, s12                                    // 000000008F14: 800C0C38
	s_addc_u32 s13, 0, s13                                     // 000000008F18: 820D0D80
	v_mfma_f32_16x16x16_bf16 v[76:79], a[126:127], v[254:255], v[76:79]// 000000008F1C: D3E1004C 0D33FD7E
	s_add_u32 s8, s59, s8                                      // 000000008F24: 8008083B
	s_addc_u32 s9, 0, s9                                       // 000000008F28: 82090980
	v_mul_f32_e32 v64, v8, v64                                 // 000000008F2C: 0A808108
	v_mul_f32_e32 v65, v8, v65                                 // 000000008F30: 0A828308
	v_mul_f32_e32 v66, v8, v66                                 // 000000008F34: 0A848508
	v_mul_f32_e32 v67, v8, v67                                 // 000000008F38: 0A868708
	v_mul_f32_e32 v68, v9, v68                                 // 000000008F3C: 0A888909
	v_mul_f32_e32 v69, v9, v69                                 // 000000008F40: 0A8A8B09
	v_mul_f32_e32 v70, v9, v70                                 // 000000008F44: 0A8C8D09
	v_mul_f32_e32 v71, v9, v71                                 // 000000008F48: 0A8E8F09
	v_mul_f32_e32 v72, v8, v72                                 // 000000008F4C: 0A909108
	v_mul_f32_e32 v73, v8, v73                                 // 000000008F50: 0A929308
	v_mul_f32_e32 v74, v8, v74                                 // 000000008F54: 0A949508
	v_mul_f32_e32 v75, v8, v75                                 // 000000008F58: 0A969708
	v_mul_f32_e32 v76, v9, v76                                 // 000000008F5C: 0A989909
	v_mul_f32_e32 v77, v9, v77                                 // 000000008F60: 0A9A9B09
	v_mul_f32_e32 v78, v9, v78                                 // 000000008F64: 0A9C9D09
	v_mul_f32_e32 v79, v9, v79                                 // 000000008F68: 0A9E9F09
	v_cvt_pkrtz_f16_f32 v64, v64, v65                          // 000000008F6C: D2960040 00028340
	v_cvt_pkrtz_f16_f32 v65, v66, v67                          // 000000008F74: D2960041 00028742
	v_cvt_pkrtz_f16_f32 v66, v68, v69                          // 000000008F7C: D2960042 00028B44
	v_cvt_pkrtz_f16_f32 v67, v70, v71                          // 000000008F84: D2960043 00028F46
	v_cvt_pkrtz_f16_f32 v68, v72, v73                          // 000000008F8C: D2960044 00029348
	v_cvt_pkrtz_f16_f32 v69, v74, v75                          // 000000008F94: D2960045 0002974A
	v_cvt_pkrtz_f16_f32 v70, v76, v77                          // 000000008F9C: D2960046 00029B4C
	v_cvt_pkrtz_f16_f32 v71, v78, v79                          // 000000008FA4: D2960047 00029F4E
	s_addk_i32 s80, 0x80                                       // 000000008FAC: B7500080
	s_cmp_lt_i32 s80, s81                                      // 000000008FB0: BF045150
	s_cbranch_scc0 label_0E15                                  // 000000008FB4: BF84F5A7
	s_waitcnt vmcnt(30) lgkmcnt(0)                             // 000000008FB8: BF8C407E
	s_barrier                                                  // 000000008FBC: BF8A0000
	v_mfma_f32_16x16x16_bf16 v[80:83], a[128:129], v[128:129], 0// 000000008FC0: D3E10050 0A030180
	buffer_load_dwordx4 a[0:3], v18, s[12:15], 0 offen         // 000000008FC8: E05C1000 80830012
	v_mfma_f32_16x16x16_bf16 v[80:83], a[130:131], v[130:131], v[80:83]// 000000008FD0: D3E10050 0D430582
	ds_read_b32 v10, v4 offset:25344                           // 000000008FD8: D86C6300 0A000004
	ds_read_b32 v11, v4 offset:25376                           // 000000008FE0: D86C6320 0B000004
	v_mfma_f32_16x16x16_bf16 v[80:83], a[132:133], v[132:133], v[80:83]// 000000008FE8: D3E10050 0D430984
	v_mfma_f32_16x16x16_bf16 v[80:83], a[134:135], v[134:135], v[80:83]// 000000008FF0: D3E10050 0D430D86
	ds_read_b32 v12, v4 offset:25408                           // 000000008FF8: D86C6340 0C000004
	ds_read_b32 v13, v4 offset:25440                           // 000000009000: D86C6360 0D000004
	v_mfma_f32_16x16x16_bf16 v[80:83], a[136:137], v[136:137], v[80:83]// 000000009008: D3E10050 0D431188
	buffer_load_dwordx4 a[4:7], v18, s[12:15], 0 offen offset:1024// 000000009010: E05C1400 80830412
	v_mfma_f32_16x16x16_bf16 v[80:83], a[138:139], v[138:139], v[80:83]// 000000009018: D3E10050 0D43158A
	ds_read_b32 v14, v4 offset:29696                           // 000000009020: D86C7400 0E000004
	ds_read_b32 v15, v4 offset:29728                           // 000000009028: D86C7420 0F000004
	v_mfma_f32_16x16x16_bf16 v[80:83], a[140:141], v[140:141], v[80:83]// 000000009030: D3E10050 0D43198C
	v_mfma_f32_16x16x16_bf16 v[80:83], a[142:143], v[142:143], v[80:83]// 000000009038: D3E10050 0D431D8E
	ds_read_b32 v16, v4 offset:29760                           // 000000009040: D86C7440 10000004
	ds_read_b32 v17, v4 offset:29792                           // 000000009048: D86C7460 11000004
	v_mfma_f32_16x16x16_bf16 v[84:87], a[128:129], v[192:193], 0// 000000009050: D3E10054 0A038180
	buffer_load_dwordx4 a[8:11], v18, s[12:15], 0 offen offset:2048// 000000009058: E05C1800 80830812
	v_mfma_f32_16x16x16_bf16 v[84:87], a[130:131], v[194:195], v[84:87]// 000000009060: D3E10054 0D538582
	v_mfma_f32_16x16x16_bf16 v[84:87], a[132:133], v[196:197], v[84:87]// 000000009068: D3E10054 0D538984
	v_mfma_f32_16x16x16_bf16 v[84:87], a[134:135], v[198:199], v[84:87]// 000000009070: D3E10054 0D538D86
	v_mfma_f32_16x16x16_bf16 v[84:87], a[136:137], v[200:201], v[84:87]// 000000009078: D3E10054 0D539188
	buffer_load_dwordx4 a[12:15], v18, s[12:15], 0 offen offset:3072// 000000009080: E05C1C00 80830C12
	v_mfma_f32_16x16x16_bf16 v[84:87], a[138:139], v[202:203], v[84:87]// 000000009088: D3E10054 0D53958A
	v_mfma_f32_16x16x16_bf16 v[84:87], a[140:141], v[204:205], v[84:87]// 000000009090: D3E10054 0D53998C
	s_waitcnt lgkmcnt(0)                                       // 000000009098: BF8CC07F
	s_mov_b64 exec, s[16:17]                                   // 00000000909C: BEFE0110
	global_atomic_pk_add_f16 v34, v10, s[8:9]                  // 0000000090A0: DD388000 00080A22
	s_mov_b64 exec, s[38:39]                                   // 0000000090A8: BEFE0126
	v_mfma_f32_16x16x16_bf16 v[84:87], a[142:143], v[206:207], v[84:87]// 0000000090AC: D3E10054 0D539D8E
	v_mfma_f32_16x16x16_bf16 v[88:91], a[144:145], v[128:129], 0// 0000000090B4: D3E10058 0A030190
	buffer_load_dwordx4 a[16:19], v19, s[12:15], 0 offen       // 0000000090BC: E05C1000 80831013
	v_mfma_f32_16x16x16_bf16 v[88:91], a[146:147], v[130:131], v[88:91]// 0000000090C4: D3E10058 0D630592
	v_mfma_f32_16x16x16_bf16 v[88:91], a[148:149], v[132:133], v[88:91]// 0000000090CC: D3E10058 0D630994
	v_mfma_f32_16x16x16_bf16 v[88:91], a[150:151], v[134:135], v[88:91]// 0000000090D4: D3E10058 0D630D96
	v_mfma_f32_16x16x16_bf16 v[88:91], a[152:153], v[136:137], v[88:91]// 0000000090DC: D3E10058 0D631198
	buffer_load_dwordx4 a[20:23], v19, s[12:15], 0 offen offset:1024// 0000000090E4: E05C1400 80831413
	v_mfma_f32_16x16x16_bf16 v[88:91], a[154:155], v[138:139], v[88:91]// 0000000090EC: D3E10058 0D63159A
	v_mfma_f32_16x16x16_bf16 v[88:91], a[156:157], v[140:141], v[88:91]// 0000000090F4: D3E10058 0D63199C
	v_mfma_f32_16x16x16_bf16 v[88:91], a[158:159], v[142:143], v[88:91]// 0000000090FC: D3E10058 0D631D9E
	v_mfma_f32_16x16x16_bf16 v[92:95], a[144:145], v[192:193], 0// 000000009104: D3E1005C 0A038190
	buffer_load_dwordx4 a[24:27], v19, s[12:15], 0 offen offset:2048// 00000000910C: E05C1800 80831813
	v_mfma_f32_16x16x16_bf16 v[92:95], a[146:147], v[194:195], v[92:95]// 000000009114: D3E1005C 0D738592
	v_mfma_f32_16x16x16_bf16 v[92:95], a[148:149], v[196:197], v[92:95]// 00000000911C: D3E1005C 0D738994
	v_mfma_f32_16x16x16_bf16 v[92:95], a[150:151], v[198:199], v[92:95]// 000000009124: D3E1005C 0D738D96
	v_mfma_f32_16x16x16_bf16 v[92:95], a[152:153], v[200:201], v[92:95]// 00000000912C: D3E1005C 0D739198
	buffer_load_dwordx4 a[28:31], v19, s[12:15], 0 offen offset:3072// 000000009134: E05C1C00 80831C13
	v_mfma_f32_16x16x16_bf16 v[92:95], a[154:155], v[202:203], v[92:95]// 00000000913C: D3E1005C 0D73959A
	v_mfma_f32_16x16x16_bf16 v[92:95], a[156:157], v[204:205], v[92:95]// 000000009144: D3E1005C 0D73999C
	s_mov_b64 exec, s[18:19]                                   // 00000000914C: BEFE0112
	global_atomic_pk_add_f16 v36, v11, s[8:9]                  // 000000009150: DD388000 00080B24
	s_mov_b64 exec, s[38:39]                                   // 000000009158: BEFE0126
	v_mfma_f32_16x16x16_bf16 v[92:95], a[158:159], v[206:207], v[92:95]// 00000000915C: D3E1005C 0D739D9E
	s_waitcnt vmcnt(30)                                        // 000000009164: BF8C4F7E
	v_mfma_f32_16x16x16_bf16 v[80:83], a[160:161], v[144:145], v[80:83]// 000000009168: D3E10050 0D4321A0
	buffer_load_dwordx4 a[32:35], v20, s[12:15], 0 offen       // 000000009170: E05C1000 80832014
	v_mfma_f32_16x16x16_bf16 v[80:83], a[162:163], v[146:147], v[80:83]// 000000009178: D3E10050 0D4325A2
	ds_write_b64 v3, v[64:65] offset:16640                     // 000000009180: D89A4100 00004003
	v_mfma_f32_16x16x16_bf16 v[80:83], a[164:165], v[148:149], v[80:83]// 000000009188: D3E10050 0D4329A4
	v_mfma_f32_16x16x16_bf16 v[80:83], a[166:167], v[150:151], v[80:83]// 000000009190: D3E10050 0D432DA6
	ds_write_b64 v3, v[66:67] offset:20992                     // 000000009198: D89A5200 00004203
	v_mfma_f32_16x16x16_bf16 v[80:83], a[168:169], v[152:153], v[80:83]// 0000000091A0: D3E10050 0D4331A8
	buffer_load_dwordx4 a[36:39], v20, s[12:15], 0 offen offset:1024// 0000000091A8: E05C1400 80832414
	v_mfma_f32_16x16x16_bf16 v[80:83], a[170:171], v[154:155], v[80:83]// 0000000091B0: D3E10050 0D4335AA
	ds_write_b64 v3, v[68:69] offset:18816                     // 0000000091B8: D89A4980 00004403
	v_mfma_f32_16x16x16_bf16 v[80:83], a[172:173], v[156:157], v[80:83]// 0000000091C0: D3E10050 0D4339AC
	v_mfma_f32_16x16x16_bf16 v[80:83], a[174:175], v[158:159], v[80:83]// 0000000091C8: D3E10050 0D433DAE
	ds_write_b64 v3, v[70:71] offset:23168                     // 0000000091D0: D89A5A80 00004603
	v_mfma_f32_16x16x16_bf16 v[84:87], a[160:161], v[208:209], v[84:87]// 0000000091D8: D3E10054 0D53A1A0
	buffer_load_dwordx4 a[40:43], v20, s[12:15], 0 offen offset:2048// 0000000091E0: E05C1800 80832814
	v_mfma_f32_16x16x16_bf16 v[84:87], a[162:163], v[210:211], v[84:87]// 0000000091E8: D3E10054 0D53A5A2
	v_mfma_f32_16x16x16_bf16 v[84:87], a[164:165], v[212:213], v[84:87]// 0000000091F0: D3E10054 0D53A9A4
	v_mfma_f32_16x16x16_bf16 v[84:87], a[166:167], v[214:215], v[84:87]// 0000000091F8: D3E10054 0D53ADA6
	v_mfma_f32_16x16x16_bf16 v[84:87], a[168:169], v[216:217], v[84:87]// 000000009200: D3E10054 0D53B1A8
	buffer_load_dwordx4 a[44:47], v20, s[12:15], 0 offen offset:3072// 000000009208: E05C1C00 80832C14
	v_mfma_f32_16x16x16_bf16 v[84:87], a[170:171], v[218:219], v[84:87]// 000000009210: D3E10054 0D53B5AA
	v_mfma_f32_16x16x16_bf16 v[84:87], a[172:173], v[220:221], v[84:87]// 000000009218: D3E10054 0D53B9AC
	s_mov_b64 exec, s[20:21]                                   // 000000009220: BEFE0114
	global_atomic_pk_add_f16 v38, v12, s[8:9]                  // 000000009224: DD388000 00080C26
	s_mov_b64 exec, s[38:39]                                   // 00000000922C: BEFE0126
	v_mfma_f32_16x16x16_bf16 v[84:87], a[174:175], v[222:223], v[84:87]// 000000009230: D3E10054 0D53BDAE
	v_mfma_f32_16x16x16_bf16 v[88:91], a[176:177], v[144:145], v[88:91]// 000000009238: D3E10058 0D6321B0
	buffer_load_dwordx4 a[48:51], v21, s[12:15], 0 offen       // 000000009240: E05C1000 80833015
	v_mfma_f32_16x16x16_bf16 v[88:91], a[178:179], v[146:147], v[88:91]// 000000009248: D3E10058 0D6325B2
	v_mfma_f32_16x16x16_bf16 v[88:91], a[180:181], v[148:149], v[88:91]// 000000009250: D3E10058 0D6329B4
	v_mfma_f32_16x16x16_bf16 v[88:91], a[182:183], v[150:151], v[88:91]// 000000009258: D3E10058 0D632DB6
	v_mfma_f32_16x16x16_bf16 v[88:91], a[184:185], v[152:153], v[88:91]// 000000009260: D3E10058 0D6331B8
	buffer_load_dwordx4 a[52:55], v21, s[12:15], 0 offen offset:1024// 000000009268: E05C1400 80833415
	v_mfma_f32_16x16x16_bf16 v[88:91], a[186:187], v[154:155], v[88:91]// 000000009270: D3E10058 0D6335BA
	v_mfma_f32_16x16x16_bf16 v[88:91], a[188:189], v[156:157], v[88:91]// 000000009278: D3E10058 0D6339BC
	v_mfma_f32_16x16x16_bf16 v[88:91], a[190:191], v[158:159], v[88:91]// 000000009280: D3E10058 0D633DBE
	v_mfma_f32_16x16x16_bf16 v[92:95], a[176:177], v[208:209], v[92:95]// 000000009288: D3E1005C 0D73A1B0
	buffer_load_dwordx4 a[56:59], v21, s[12:15], 0 offen offset:2048// 000000009290: E05C1800 80833815
	v_mfma_f32_16x16x16_bf16 v[92:95], a[178:179], v[210:211], v[92:95]// 000000009298: D3E1005C 0D73A5B2
	v_mfma_f32_16x16x16_bf16 v[92:95], a[180:181], v[212:213], v[92:95]// 0000000092A0: D3E1005C 0D73A9B4
	v_mfma_f32_16x16x16_bf16 v[92:95], a[182:183], v[214:215], v[92:95]// 0000000092A8: D3E1005C 0D73ADB6
	v_mfma_f32_16x16x16_bf16 v[92:95], a[184:185], v[216:217], v[92:95]// 0000000092B0: D3E1005C 0D73B1B8
	buffer_load_dwordx4 a[60:63], v21, s[12:15], 0 offen offset:3072// 0000000092B8: E05C1C00 80833C15
	v_mfma_f32_16x16x16_bf16 v[92:95], a[186:187], v[218:219], v[92:95]// 0000000092C0: D3E1005C 0D73B5BA
	v_mfma_f32_16x16x16_bf16 v[92:95], a[188:189], v[220:221], v[92:95]// 0000000092C8: D3E1005C 0D73B9BC
	s_mov_b64 exec, s[22:23]                                   // 0000000092D0: BEFE0116
	global_atomic_pk_add_f16 v40, v13, s[8:9]                  // 0000000092D4: DD388000 00080D28
	s_mov_b64 exec, s[38:39]                                   // 0000000092DC: BEFE0126
	v_mfma_f32_16x16x16_bf16 v[92:95], a[190:191], v[222:223], v[92:95]// 0000000092E0: D3E1005C 0D73BDBE
	s_waitcnt vmcnt(30)                                        // 0000000092E8: BF8C4F7E
	v_mfma_f32_16x16x16_bf16 v[80:83], a[192:193], v[160:161], v[80:83]// 0000000092EC: D3E10050 0D4341C0
	buffer_load_dwordx4 a[64:67], v22, s[12:15], 0 offen       // 0000000092F4: E05C1000 80834016
	v_mfma_f32_16x16x16_bf16 v[80:83], a[194:195], v[162:163], v[80:83]// 0000000092FC: D3E10050 0D4345C2
	v_mfma_f32_16x16x16_bf16 v[80:83], a[196:197], v[164:165], v[80:83]// 000000009304: D3E10050 0D4349C4
	s_add_u32 s60, 0x100, s80                                  // 00000000930C: 803C50FF 00000100
	s_cmp_lt_u32 s60, s81                                      // 000000009314: BF0A513C
	s_cselect_b32 s56, s56, 0                                  // 000000009318: 85388038
	v_mfma_f32_16x16x16_bf16 v[80:83], a[198:199], v[166:167], v[80:83]// 00000000931C: D3E10050 0D434DC6
	v_mfma_f32_16x16x16_bf16 v[80:83], a[200:201], v[168:169], v[80:83]// 000000009324: D3E10050 0D4351C8
	buffer_load_dwordx4 a[68:71], v22, s[12:15], 0 offen offset:1024// 00000000932C: E05C1400 80834416
	v_mfma_f32_16x16x16_bf16 v[80:83], a[202:203], v[170:171], v[80:83]// 000000009334: D3E10050 0D4355CA
	v_mfma_f32_16x16x16_bf16 v[80:83], a[204:205], v[172:173], v[80:83]// 00000000933C: D3E10050 0D4359CC
	s_cmp_ge_u32 s80, 0x100                                    // 000000009344: BF09FF50 00000100
	s_cselect_b32 s59, 0x100, s59                              // 00000000934C: 853B3BFF 00000100
	v_mfma_f32_16x16x16_bf16 v[80:83], a[206:207], v[174:175], v[80:83]// 000000009354: D3E10050 0D435DCE
	v_mfma_f32_16x16x16_bf16 v[84:87], a[192:193], v[224:225], v[84:87]// 00000000935C: D3E10054 0D53C1C0
	buffer_load_dwordx4 a[72:75], v22, s[12:15], 0 offen offset:2048// 000000009364: E05C1800 80834816
	v_mfma_f32_16x16x16_bf16 v[84:87], a[194:195], v[226:227], v[84:87]// 00000000936C: D3E10054 0D53C5C2
	v_mfma_f32_16x16x16_bf16 v[84:87], a[196:197], v[228:229], v[84:87]// 000000009374: D3E10054 0D53C9C4
	s_add_u32 s16, s57, s16                                    // 00000000937C: 80101039
	s_addc_u32 s17, 0, s17                                     // 000000009380: 82111180
	v_mfma_f32_16x16x16_bf16 v[84:87], a[198:199], v[230:231], v[84:87]// 000000009384: D3E10054 0D53CDC6
	v_mfma_f32_16x16x16_bf16 v[84:87], a[200:201], v[232:233], v[84:87]// 00000000938C: D3E10054 0D53D1C8
	buffer_load_dwordx4 a[76:79], v22, s[12:15], 0 offen offset:3072// 000000009394: E05C1C00 80834C16
	v_mfma_f32_16x16x16_bf16 v[84:87], a[202:203], v[234:235], v[84:87]// 00000000939C: D3E10054 0D53D5CA
	v_mfma_f32_16x16x16_bf16 v[84:87], a[204:205], v[236:237], v[84:87]// 0000000093A4: D3E10054 0D53D9CC
	s_mov_b64 exec, s[24:25]                                   // 0000000093AC: BEFE0118
	global_atomic_pk_add_f16 v42, v14, s[8:9]                  // 0000000093B0: DD388000 00080E2A
	s_mov_b64 exec, s[38:39]                                   // 0000000093B8: BEFE0126
	v_mfma_f32_16x16x16_bf16 v[84:87], a[206:207], v[238:239], v[84:87]// 0000000093BC: D3E10054 0D53DDCE
	v_mfma_f32_16x16x16_bf16 v[88:91], a[208:209], v[160:161], v[88:91]// 0000000093C4: D3E10058 0D6341D0
	buffer_load_dwordx4 a[80:83], v23, s[12:15], 0 offen       // 0000000093CC: E05C1000 80835017
	v_mfma_f32_16x16x16_bf16 v[88:91], a[210:211], v[162:163], v[88:91]// 0000000093D4: D3E10058 0D6345D2
	v_mfma_f32_16x16x16_bf16 v[88:91], a[212:213], v[164:165], v[88:91]// 0000000093DC: D3E10058 0D6349D4
	v_mfma_f32_16x16x16_bf16 v[88:91], a[214:215], v[166:167], v[88:91]// 0000000093E4: D3E10058 0D634DD6
	v_mfma_f32_16x16x16_bf16 v[88:91], a[216:217], v[168:169], v[88:91]// 0000000093EC: D3E10058 0D6351D8
	buffer_load_dwordx4 a[84:87], v23, s[12:15], 0 offen offset:1024// 0000000093F4: E05C1400 80835417
	v_mfma_f32_16x16x16_bf16 v[88:91], a[218:219], v[170:171], v[88:91]// 0000000093FC: D3E10058 0D6355DA
	v_mfma_f32_16x16x16_bf16 v[88:91], a[220:221], v[172:173], v[88:91]// 000000009404: D3E10058 0D6359DC
	v_mfma_f32_16x16x16_bf16 v[88:91], a[222:223], v[174:175], v[88:91]// 00000000940C: D3E10058 0D635DDE
	v_mfma_f32_16x16x16_bf16 v[92:95], a[208:209], v[224:225], v[92:95]// 000000009414: D3E1005C 0D73C1D0
	buffer_load_dwordx4 a[88:91], v23, s[12:15], 0 offen offset:2048// 00000000941C: E05C1800 80835817
	v_mfma_f32_16x16x16_bf16 v[92:95], a[210:211], v[226:227], v[92:95]// 000000009424: D3E1005C 0D73C5D2
	v_mfma_f32_16x16x16_bf16 v[92:95], a[212:213], v[228:229], v[92:95]// 00000000942C: D3E1005C 0D73C9D4
	v_mfma_f32_16x16x16_bf16 v[92:95], a[214:215], v[230:231], v[92:95]// 000000009434: D3E1005C 0D73CDD6
	v_mfma_f32_16x16x16_bf16 v[92:95], a[216:217], v[232:233], v[92:95]// 00000000943C: D3E1005C 0D73D1D8
	buffer_load_dwordx4 a[92:95], v23, s[12:15], 0 offen offset:3072// 000000009444: E05C1C00 80835C17
	v_mfma_f32_16x16x16_bf16 v[92:95], a[218:219], v[234:235], v[92:95]// 00000000944C: D3E1005C 0D73D5DA
	v_mfma_f32_16x16x16_bf16 v[92:95], a[220:221], v[236:237], v[92:95]// 000000009454: D3E1005C 0D73D9DC
	s_mov_b64 exec, s[26:27]                                   // 00000000945C: BEFE011A
	global_atomic_pk_add_f16 v44, v15, s[8:9]                  // 000000009460: DD388000 00080F2C
	s_mov_b64 exec, s[38:39]                                   // 000000009468: BEFE0126
	v_mfma_f32_16x16x16_bf16 v[92:95], a[222:223], v[238:239], v[92:95]// 00000000946C: D3E1005C 0D73DDDE
	s_waitcnt vmcnt(30)                                        // 000000009474: BF8C4F7E
	v_mfma_f32_16x16x16_bf16 v[80:83], a[224:225], v[176:177], v[80:83]// 000000009478: D3E10050 0D4361E0
	buffer_load_dwordx4 a[96:99], v24, s[12:15], 0 offen       // 000000009480: E05C1000 80836018
	v_mfma_f32_16x16x16_bf16 v[80:83], a[226:227], v[178:179], v[80:83]// 000000009488: D3E10050 0D4365E2
	v_mfma_f32_16x16x16_bf16 v[80:83], a[228:229], v[180:181], v[80:83]// 000000009490: D3E10050 0D4369E4
	v_mfma_f32_16x16x16_bf16 v[80:83], a[230:231], v[182:183], v[80:83]// 000000009498: D3E10050 0D436DE6
	v_mfma_f32_16x16x16_bf16 v[80:83], a[232:233], v[184:185], v[80:83]// 0000000094A0: D3E10050 0D4371E8
	buffer_load_dwordx4 a[100:103], v24, s[12:15], 0 offen offset:1024// 0000000094A8: E05C1400 80836418
	v_mfma_f32_16x16x16_bf16 v[80:83], a[234:235], v[186:187], v[80:83]// 0000000094B0: D3E10050 0D4375EA
	v_mfma_f32_16x16x16_bf16 v[80:83], a[236:237], v[188:189], v[80:83]// 0000000094B8: D3E10050 0D4379EC
	v_mfma_f32_16x16x16_bf16 v[80:83], a[238:239], v[190:191], v[80:83]// 0000000094C0: D3E10050 0D437DEE
	v_mfma_f32_16x16x16_bf16 v[84:87], a[224:225], v[240:241], v[84:87]// 0000000094C8: D3E10054 0D53E1E0
	buffer_load_dwordx4 a[104:107], v24, s[12:15], 0 offen offset:2048// 0000000094D0: E05C1800 80836818
	v_mfma_f32_16x16x16_bf16 v[84:87], a[226:227], v[242:243], v[84:87]// 0000000094D8: D3E10054 0D53E5E2
	v_mfma_f32_16x16x16_bf16 v[84:87], a[228:229], v[244:245], v[84:87]// 0000000094E0: D3E10054 0D53E9E4
	v_mfma_f32_16x16x16_bf16 v[84:87], a[230:231], v[246:247], v[84:87]// 0000000094E8: D3E10054 0D53EDE6
	v_mfma_f32_16x16x16_bf16 v[84:87], a[232:233], v[248:249], v[84:87]// 0000000094F0: D3E10054 0D53F1E8
	buffer_load_dwordx4 a[108:111], v24, s[12:15], 0 offen offset:3072// 0000000094F8: E05C1C00 80836C18
	v_mfma_f32_16x16x16_bf16 v[84:87], a[234:235], v[250:251], v[84:87]// 000000009500: D3E10054 0D53F5EA
	v_mfma_f32_16x16x16_bf16 v[84:87], a[236:237], v[252:253], v[84:87]// 000000009508: D3E10054 0D53F9EC
	s_mov_b64 exec, s[28:29]                                   // 000000009510: BEFE011C
	global_atomic_pk_add_f16 v46, v16, s[8:9]                  // 000000009514: DD388000 0008102E
	s_mov_b64 exec, s[38:39]                                   // 00000000951C: BEFE0126
	v_mfma_f32_16x16x16_bf16 v[84:87], a[238:239], v[254:255], v[84:87]// 000000009520: D3E10054 0D53FDEE
	v_mfma_f32_16x16x16_bf16 v[88:91], a[240:241], v[176:177], v[88:91]// 000000009528: D3E10058 0D6361F0
	buffer_load_dwordx4 a[112:115], v25, s[12:15], 0 offen     // 000000009530: E05C1000 80837019
	v_mfma_f32_16x16x16_bf16 v[88:91], a[242:243], v[178:179], v[88:91]// 000000009538: D3E10058 0D6365F2
	v_mfma_f32_16x16x16_bf16 v[88:91], a[244:245], v[180:181], v[88:91]// 000000009540: D3E10058 0D6369F4
	v_mfma_f32_16x16x16_bf16 v[88:91], a[246:247], v[182:183], v[88:91]// 000000009548: D3E10058 0D636DF6
	v_mfma_f32_16x16x16_bf16 v[88:91], a[248:249], v[184:185], v[88:91]// 000000009550: D3E10058 0D6371F8
	buffer_load_dwordx4 a[116:119], v25, s[12:15], 0 offen offset:1024// 000000009558: E05C1400 80837419
	v_mfma_f32_16x16x16_bf16 v[88:91], a[250:251], v[186:187], v[88:91]// 000000009560: D3E10058 0D6375FA
	v_mfma_f32_16x16x16_bf16 v[88:91], a[252:253], v[188:189], v[88:91]// 000000009568: D3E10058 0D6379FC
	v_mfma_f32_16x16x16_bf16 v[88:91], a[254:255], v[190:191], v[88:91]// 000000009570: D3E10058 0D637DFE
	v_mfma_f32_16x16x16_bf16 v[92:95], a[240:241], v[240:241], v[92:95]// 000000009578: D3E1005C 0D73E1F0
	buffer_load_dwordx4 a[120:123], v25, s[12:15], 0 offen offset:2048// 000000009580: E05C1800 80837819
	v_mfma_f32_16x16x16_bf16 v[92:95], a[242:243], v[242:243], v[92:95]// 000000009588: D3E1005C 0D73E5F2
	v_mfma_f32_16x16x16_bf16 v[92:95], a[244:245], v[244:245], v[92:95]// 000000009590: D3E1005C 0D73E9F4
	v_mfma_f32_16x16x16_bf16 v[92:95], a[246:247], v[246:247], v[92:95]// 000000009598: D3E1005C 0D73EDF6
	v_mfma_f32_16x16x16_bf16 v[92:95], a[248:249], v[248:249], v[92:95]// 0000000095A0: D3E1005C 0D73F1F8
	buffer_load_dwordx4 a[124:127], v25, s[12:15], 0 offen offset:3072// 0000000095A8: E05C1C00 80837C19
	v_mfma_f32_16x16x16_bf16 v[92:95], a[250:251], v[250:251], v[92:95]// 0000000095B0: D3E1005C 0D73F5FA
	v_mfma_f32_16x16x16_bf16 v[92:95], a[252:253], v[252:253], v[92:95]// 0000000095B8: D3E1005C 0D73F9FC
	s_mov_b64 exec, s[30:31]                                   // 0000000095C0: BEFE011E
	global_atomic_pk_add_f16 v48, v17, s[8:9]                  // 0000000095C4: DD388000 00081130
	s_mov_b64 exec, s[38:39]                                   // 0000000095CC: BEFE0126
	s_add_u32 s12, s56, s12                                    // 0000000095D0: 800C0C38
	s_addc_u32 s13, 0, s13                                     // 0000000095D4: 820D0D80
	v_mfma_f32_16x16x16_bf16 v[92:95], a[254:255], v[254:255], v[92:95]// 0000000095D8: D3E1005C 0D73FDFE
	s_add_u32 s8, s59, s8                                      // 0000000095E0: 8008083B
	s_addc_u32 s9, 0, s9                                       // 0000000095E4: 82090980
	v_mul_f32_e32 v80, v8, v80                                 // 0000000095E8: 0AA0A108
	v_mul_f32_e32 v81, v8, v81                                 // 0000000095EC: 0AA2A308
	v_mul_f32_e32 v82, v8, v82                                 // 0000000095F0: 0AA4A508
	v_mul_f32_e32 v83, v8, v83                                 // 0000000095F4: 0AA6A708
	v_mul_f32_e32 v84, v9, v84                                 // 0000000095F8: 0AA8A909
	v_mul_f32_e32 v85, v9, v85                                 // 0000000095FC: 0AAAAB09
	v_mul_f32_e32 v86, v9, v86                                 // 000000009600: 0AACAD09
	v_mul_f32_e32 v87, v9, v87                                 // 000000009604: 0AAEAF09
	v_mul_f32_e32 v88, v8, v88                                 // 000000009608: 0AB0B108
	v_mul_f32_e32 v89, v8, v89                                 // 00000000960C: 0AB2B308
	v_mul_f32_e32 v90, v8, v90                                 // 000000009610: 0AB4B508
	v_mul_f32_e32 v91, v8, v91                                 // 000000009614: 0AB6B708
	v_mul_f32_e32 v92, v9, v92                                 // 000000009618: 0AB8B909
	v_mul_f32_e32 v93, v9, v93                                 // 00000000961C: 0ABABB09
	v_mul_f32_e32 v94, v9, v94                                 // 000000009620: 0ABCBD09
	v_mul_f32_e32 v95, v9, v95                                 // 000000009624: 0ABEBF09
	v_cvt_pkrtz_f16_f32 v80, v80, v81                          // 000000009628: D2960050 0002A350
	v_cvt_pkrtz_f16_f32 v81, v82, v83                          // 000000009630: D2960051 0002A752
	v_cvt_pkrtz_f16_f32 v82, v84, v85                          // 000000009638: D2960052 0002AB54
	v_cvt_pkrtz_f16_f32 v83, v86, v87                          // 000000009640: D2960053 0002AF56
	v_cvt_pkrtz_f16_f32 v84, v88, v89                          // 000000009648: D2960054 0002B358
	v_cvt_pkrtz_f16_f32 v85, v90, v91                          // 000000009650: D2960055 0002B75A
	v_cvt_pkrtz_f16_f32 v86, v92, v93                          // 000000009658: D2960056 0002BB5C
	v_cvt_pkrtz_f16_f32 v87, v94, v95                          // 000000009660: D2960057 0002BF5E
	s_addk_i32 s80, 0x80                                       // 000000009668: B7500080
	s_cmp_lt_i32 s80, s81                                      // 00000000966C: BF045150
	s_cbranch_scc0 label_0E15                                  // 000000009670: BF84F3F8
	s_branch label_16BF                                        // 000000009674: BF82FCA1

0000000000009678 <label_1A1E>:
	s_waitcnt lgkmcnt(0)                                       // 000000009678: BF8CC07F
	s_barrier                                                  // 00000000967C: BF8A0000
	ds_read_b32 v10, v4 offset:16640                           // 000000009680: D86C4100 0A000004
	ds_read_b32 v11, v4 offset:16672                           // 000000009688: D86C4120 0B000004
	ds_read_b32 v12, v4 offset:16704                           // 000000009690: D86C4140 0C000004
	ds_read_b32 v13, v4 offset:16736                           // 000000009698: D86C4160 0D000004
	ds_read_b32 v14, v4 offset:20992                           // 0000000096A0: D86C5200 0E000004
	ds_read_b32 v15, v4 offset:21024                           // 0000000096A8: D86C5220 0F000004
	ds_read_b32 v16, v4 offset:21056                           // 0000000096B0: D86C5240 10000004
	ds_read_b32 v17, v4 offset:21088                           // 0000000096B8: D86C5260 11000004
	s_waitcnt lgkmcnt(0)                                       // 0000000096C0: BF8CC07F
	s_mov_b64 exec, s[16:17]                                   // 0000000096C4: BEFE0110
	global_atomic_pk_add_f16 v34, v10, s[8:9]                  // 0000000096C8: DD388000 00080A22
	s_mov_b64 exec, s[38:39]                                   // 0000000096D0: BEFE0126
	s_mov_b64 exec, s[18:19]                                   // 0000000096D4: BEFE0112
	global_atomic_pk_add_f16 v36, v11, s[8:9]                  // 0000000096D8: DD388000 00080B24
	s_mov_b64 exec, s[38:39]                                   // 0000000096E0: BEFE0126
	s_mov_b64 exec, s[20:21]                                   // 0000000096E4: BEFE0114
	global_atomic_pk_add_f16 v38, v12, s[8:9]                  // 0000000096E8: DD388000 00080C26
	s_mov_b64 exec, s[38:39]                                   // 0000000096F0: BEFE0126
	s_mov_b64 exec, s[22:23]                                   // 0000000096F4: BEFE0116
	global_atomic_pk_add_f16 v40, v13, s[8:9]                  // 0000000096F8: DD388000 00080D28
	s_mov_b64 exec, s[38:39]                                   // 000000009700: BEFE0126
	s_mov_b64 exec, s[24:25]                                   // 000000009704: BEFE0118
	global_atomic_pk_add_f16 v42, v14, s[8:9]                  // 000000009708: DD388000 00080E2A
	s_mov_b64 exec, s[38:39]                                   // 000000009710: BEFE0126
	s_mov_b64 exec, s[26:27]                                   // 000000009714: BEFE011A
	global_atomic_pk_add_f16 v44, v15, s[8:9]                  // 000000009718: DD388000 00080F2C
	s_mov_b64 exec, s[38:39]                                   // 000000009720: BEFE0126
	s_mov_b64 exec, s[28:29]                                   // 000000009724: BEFE011C
	global_atomic_pk_add_f16 v46, v16, s[8:9]                  // 000000009728: DD388000 0008102E
	s_mov_b64 exec, s[38:39]                                   // 000000009730: BEFE0126
	s_mov_b64 exec, s[30:31]                                   // 000000009734: BEFE011E
	global_atomic_pk_add_f16 v48, v17, s[8:9]                  // 000000009738: DD388000 00081130
	s_mov_b64 exec, s[38:39]                                   // 000000009740: BEFE0126
	s_add_u32 s8, s59, s8                                      // 000000009744: 8008083B
	s_addc_u32 s9, 0, s9                                       // 000000009748: 82090980
	ds_write_b64 v3, v[80:81] offset:25344                     // 00000000974C: D89A6300 00005003
	ds_write_b64 v3, v[82:83] offset:29696                     // 000000009754: D89A7400 00005203
	ds_write_b64 v3, v[84:85] offset:27520                     // 00000000975C: D89A6B80 00005403
	ds_write_b64 v3, v[86:87] offset:31872                     // 000000009764: D89A7C80 00005603
	s_waitcnt lgkmcnt(0)                                       // 00000000976C: BF8CC07F
	s_barrier                                                  // 000000009770: BF8A0000
	ds_read_b32 v10, v4 offset:25344                           // 000000009774: D86C6300 0A000004
	ds_read_b32 v11, v4 offset:25376                           // 00000000977C: D86C6320 0B000004
	ds_read_b32 v12, v4 offset:25408                           // 000000009784: D86C6340 0C000004
	ds_read_b32 v13, v4 offset:25440                           // 00000000978C: D86C6360 0D000004
	ds_read_b32 v14, v4 offset:29696                           // 000000009794: D86C7400 0E000004
	ds_read_b32 v15, v4 offset:29728                           // 00000000979C: D86C7420 0F000004
	ds_read_b32 v16, v4 offset:29760                           // 0000000097A4: D86C7440 10000004
	ds_read_b32 v17, v4 offset:29792                           // 0000000097AC: D86C7460 11000004
	s_waitcnt lgkmcnt(0)                                       // 0000000097B4: BF8CC07F
	s_mov_b64 exec, s[16:17]                                   // 0000000097B8: BEFE0110
	global_atomic_pk_add_f16 v34, v10, s[8:9]                  // 0000000097BC: DD388000 00080A22
	s_mov_b64 exec, s[38:39]                                   // 0000000097C4: BEFE0126
	s_mov_b64 exec, s[18:19]                                   // 0000000097C8: BEFE0112
	global_atomic_pk_add_f16 v36, v11, s[8:9]                  // 0000000097CC: DD388000 00080B24
	s_mov_b64 exec, s[38:39]                                   // 0000000097D4: BEFE0126
	s_mov_b64 exec, s[20:21]                                   // 0000000097D8: BEFE0114
	global_atomic_pk_add_f16 v38, v12, s[8:9]                  // 0000000097DC: DD388000 00080C26
	s_mov_b64 exec, s[38:39]                                   // 0000000097E4: BEFE0126
	s_mov_b64 exec, s[22:23]                                   // 0000000097E8: BEFE0116
	global_atomic_pk_add_f16 v40, v13, s[8:9]                  // 0000000097EC: DD388000 00080D28
	s_mov_b64 exec, s[38:39]                                   // 0000000097F4: BEFE0126
	s_mov_b64 exec, s[24:25]                                   // 0000000097F8: BEFE0118
	global_atomic_pk_add_f16 v42, v14, s[8:9]                  // 0000000097FC: DD388000 00080E2A
	s_mov_b64 exec, s[38:39]                                   // 000000009804: BEFE0126
	s_mov_b64 exec, s[26:27]                                   // 000000009808: BEFE011A
	global_atomic_pk_add_f16 v44, v15, s[8:9]                  // 00000000980C: DD388000 00080F2C
	s_mov_b64 exec, s[38:39]                                   // 000000009814: BEFE0126
	s_mov_b64 exec, s[28:29]                                   // 000000009818: BEFE011C
	global_atomic_pk_add_f16 v46, v16, s[8:9]                  // 00000000981C: DD388000 0008102E
	s_mov_b64 exec, s[38:39]                                   // 000000009824: BEFE0126
	s_mov_b64 exec, s[30:31]                                   // 000000009828: BEFE011E
	global_atomic_pk_add_f16 v48, v17, s[8:9]                  // 00000000982C: DD388000 00081130
	s_mov_b64 exec, s[38:39]                                   // 000000009834: BEFE0126

0000000000009838 <label_1A8E>:
	s_waitcnt vmcnt(0) expcnt(0) lgkmcnt(0)                    // 000000009838: BF8C0000
	s_endpgm                                                   // 00000000983C: BF810000
